;; amdgpu-corpus repo=ROCm/rocFFT kind=compiled arch=gfx906 opt=O3
	.text
	.amdgcn_target "amdgcn-amd-amdhsa--gfx906"
	.amdhsa_code_object_version 6
	.protected	fft_rtc_fwd_len816_factors_17_2_3_2_2_2_wgs_51_tpt_51_halfLds_dp_op_CI_CI_unitstride_sbrr_C2R_dirReg ; -- Begin function fft_rtc_fwd_len816_factors_17_2_3_2_2_2_wgs_51_tpt_51_halfLds_dp_op_CI_CI_unitstride_sbrr_C2R_dirReg
	.globl	fft_rtc_fwd_len816_factors_17_2_3_2_2_2_wgs_51_tpt_51_halfLds_dp_op_CI_CI_unitstride_sbrr_C2R_dirReg
	.p2align	8
	.type	fft_rtc_fwd_len816_factors_17_2_3_2_2_2_wgs_51_tpt_51_halfLds_dp_op_CI_CI_unitstride_sbrr_C2R_dirReg,@function
fft_rtc_fwd_len816_factors_17_2_3_2_2_2_wgs_51_tpt_51_halfLds_dp_op_CI_CI_unitstride_sbrr_C2R_dirReg: ; @fft_rtc_fwd_len816_factors_17_2_3_2_2_2_wgs_51_tpt_51_halfLds_dp_op_CI_CI_unitstride_sbrr_C2R_dirReg
; %bb.0:
	s_load_dwordx4 s[8:11], s[4:5], 0x58
	s_load_dwordx4 s[12:15], s[4:5], 0x0
	;; [unrolled: 1-line block ×3, first 2 shown]
	s_mov_b64 s[62:63], s[2:3]
	s_mov_b64 s[60:61], s[0:1]
	v_mul_u32_u24_e32 v1, 0x506, v0
	s_waitcnt lgkmcnt(0)
	v_cmp_lt_u64_e64 s[0:1], s[14:15], 2
	s_add_u32 s60, s60, s7
	v_add_u32_sdwa v5, s6, v1 dst_sel:DWORD dst_unused:UNUSED_PAD src0_sel:DWORD src1_sel:WORD_1
	v_mov_b32_e32 v3, 0
	v_mov_b32_e32 v1, 0
	s_addc_u32 s61, s61, 0
	v_mov_b32_e32 v6, v3
	s_and_b64 vcc, exec, s[0:1]
	v_mov_b32_e32 v2, 0
	s_cbranch_vccnz .LBB0_8
; %bb.1:
	s_load_dwordx2 s[0:1], s[4:5], 0x10
	s_add_u32 s2, s18, 8
	s_addc_u32 s3, s19, 0
	s_add_u32 s6, s16, 8
	v_mov_b32_e32 v1, 0
	s_addc_u32 s7, s17, 0
	v_mov_b32_e32 v2, 0
	s_waitcnt lgkmcnt(0)
	s_add_u32 s20, s0, 8
	v_mov_b32_e32 v113, v2
	s_addc_u32 s21, s1, 0
	s_mov_b64 s[22:23], 1
	v_mov_b32_e32 v112, v1
.LBB0_2:                                ; =>This Inner Loop Header: Depth=1
	s_load_dwordx2 s[24:25], s[20:21], 0x0
                                        ; implicit-def: $vgpr116_vgpr117
	s_waitcnt lgkmcnt(0)
	v_or_b32_e32 v4, s25, v6
	v_cmp_ne_u64_e32 vcc, 0, v[3:4]
	s_and_saveexec_b64 s[0:1], vcc
	s_xor_b64 s[26:27], exec, s[0:1]
	s_cbranch_execz .LBB0_4
; %bb.3:                                ;   in Loop: Header=BB0_2 Depth=1
	v_cvt_f32_u32_e32 v4, s24
	v_cvt_f32_u32_e32 v7, s25
	s_sub_u32 s0, 0, s24
	s_subb_u32 s1, 0, s25
	v_mac_f32_e32 v4, 0x4f800000, v7
	v_rcp_f32_e32 v4, v4
	v_mul_f32_e32 v4, 0x5f7ffffc, v4
	v_mul_f32_e32 v7, 0x2f800000, v4
	v_trunc_f32_e32 v7, v7
	v_mac_f32_e32 v4, 0xcf800000, v7
	v_cvt_u32_f32_e32 v7, v7
	v_cvt_u32_f32_e32 v4, v4
	v_mul_lo_u32 v8, s0, v7
	v_mul_hi_u32 v9, s0, v4
	v_mul_lo_u32 v11, s1, v4
	v_mul_lo_u32 v10, s0, v4
	v_add_u32_e32 v8, v9, v8
	v_add_u32_e32 v8, v8, v11
	v_mul_hi_u32 v9, v4, v10
	v_mul_lo_u32 v11, v4, v8
	v_mul_hi_u32 v13, v4, v8
	v_mul_hi_u32 v12, v7, v10
	v_mul_lo_u32 v10, v7, v10
	v_mul_hi_u32 v14, v7, v8
	v_add_co_u32_e32 v9, vcc, v9, v11
	v_addc_co_u32_e32 v11, vcc, 0, v13, vcc
	v_mul_lo_u32 v8, v7, v8
	v_add_co_u32_e32 v9, vcc, v9, v10
	v_addc_co_u32_e32 v9, vcc, v11, v12, vcc
	v_addc_co_u32_e32 v10, vcc, 0, v14, vcc
	v_add_co_u32_e32 v8, vcc, v9, v8
	v_addc_co_u32_e32 v9, vcc, 0, v10, vcc
	v_add_co_u32_e32 v4, vcc, v4, v8
	v_addc_co_u32_e32 v7, vcc, v7, v9, vcc
	v_mul_lo_u32 v8, s0, v7
	v_mul_hi_u32 v9, s0, v4
	v_mul_lo_u32 v10, s1, v4
	v_mul_lo_u32 v11, s0, v4
	v_add_u32_e32 v8, v9, v8
	v_add_u32_e32 v8, v8, v10
	v_mul_lo_u32 v12, v4, v8
	v_mul_hi_u32 v13, v4, v11
	v_mul_hi_u32 v14, v4, v8
	;; [unrolled: 1-line block ×3, first 2 shown]
	v_mul_lo_u32 v11, v7, v11
	v_mul_hi_u32 v9, v7, v8
	v_add_co_u32_e32 v12, vcc, v13, v12
	v_addc_co_u32_e32 v13, vcc, 0, v14, vcc
	v_mul_lo_u32 v8, v7, v8
	v_add_co_u32_e32 v11, vcc, v12, v11
	v_addc_co_u32_e32 v10, vcc, v13, v10, vcc
	v_addc_co_u32_e32 v9, vcc, 0, v9, vcc
	v_add_co_u32_e32 v8, vcc, v10, v8
	v_addc_co_u32_e32 v9, vcc, 0, v9, vcc
	v_add_co_u32_e32 v4, vcc, v4, v8
	v_addc_co_u32_e32 v9, vcc, v7, v9, vcc
	v_mad_u64_u32 v[7:8], s[0:1], v5, v9, 0
	v_mul_hi_u32 v10, v5, v4
	v_add_co_u32_e32 v11, vcc, v10, v7
	v_addc_co_u32_e32 v12, vcc, 0, v8, vcc
	v_mad_u64_u32 v[7:8], s[0:1], v6, v4, 0
	v_mad_u64_u32 v[9:10], s[0:1], v6, v9, 0
	v_add_co_u32_e32 v4, vcc, v11, v7
	v_addc_co_u32_e32 v4, vcc, v12, v8, vcc
	v_addc_co_u32_e32 v7, vcc, 0, v10, vcc
	v_add_co_u32_e32 v4, vcc, v4, v9
	v_addc_co_u32_e32 v9, vcc, 0, v7, vcc
	v_mul_lo_u32 v10, s25, v4
	v_mul_lo_u32 v11, s24, v9
	v_mad_u64_u32 v[7:8], s[0:1], s24, v4, 0
	v_add3_u32 v8, v8, v11, v10
	v_sub_u32_e32 v10, v6, v8
	v_mov_b32_e32 v11, s25
	v_sub_co_u32_e32 v7, vcc, v5, v7
	v_subb_co_u32_e64 v10, s[0:1], v10, v11, vcc
	v_subrev_co_u32_e64 v11, s[0:1], s24, v7
	v_subbrev_co_u32_e64 v10, s[0:1], 0, v10, s[0:1]
	v_cmp_le_u32_e64 s[0:1], s25, v10
	v_cndmask_b32_e64 v12, 0, -1, s[0:1]
	v_cmp_le_u32_e64 s[0:1], s24, v11
	v_cndmask_b32_e64 v11, 0, -1, s[0:1]
	v_cmp_eq_u32_e64 s[0:1], s25, v10
	v_cndmask_b32_e64 v10, v12, v11, s[0:1]
	v_add_co_u32_e64 v11, s[0:1], 2, v4
	v_addc_co_u32_e64 v12, s[0:1], 0, v9, s[0:1]
	v_add_co_u32_e64 v13, s[0:1], 1, v4
	v_addc_co_u32_e64 v14, s[0:1], 0, v9, s[0:1]
	v_subb_co_u32_e32 v8, vcc, v6, v8, vcc
	v_cmp_ne_u32_e64 s[0:1], 0, v10
	v_cmp_le_u32_e32 vcc, s25, v8
	v_cndmask_b32_e64 v10, v14, v12, s[0:1]
	v_cndmask_b32_e64 v12, 0, -1, vcc
	v_cmp_le_u32_e32 vcc, s24, v7
	v_cndmask_b32_e64 v7, 0, -1, vcc
	v_cmp_eq_u32_e32 vcc, s25, v8
	v_cndmask_b32_e32 v7, v12, v7, vcc
	v_cmp_ne_u32_e32 vcc, 0, v7
	v_cndmask_b32_e64 v7, v13, v11, s[0:1]
	v_cndmask_b32_e32 v117, v9, v10, vcc
	v_cndmask_b32_e32 v116, v4, v7, vcc
.LBB0_4:                                ;   in Loop: Header=BB0_2 Depth=1
	s_andn2_saveexec_b64 s[0:1], s[26:27]
	s_cbranch_execz .LBB0_6
; %bb.5:                                ;   in Loop: Header=BB0_2 Depth=1
	v_cvt_f32_u32_e32 v4, s24
	s_sub_i32 s26, 0, s24
	v_mov_b32_e32 v117, v3
	v_rcp_iflag_f32_e32 v4, v4
	v_mul_f32_e32 v4, 0x4f7ffffe, v4
	v_cvt_u32_f32_e32 v4, v4
	v_mul_lo_u32 v7, s26, v4
	v_mul_hi_u32 v7, v4, v7
	v_add_u32_e32 v4, v4, v7
	v_mul_hi_u32 v4, v5, v4
	v_mul_lo_u32 v7, v4, s24
	v_add_u32_e32 v8, 1, v4
	v_sub_u32_e32 v7, v5, v7
	v_subrev_u32_e32 v9, s24, v7
	v_cmp_le_u32_e32 vcc, s24, v7
	v_cndmask_b32_e32 v7, v7, v9, vcc
	v_cndmask_b32_e32 v4, v4, v8, vcc
	v_add_u32_e32 v8, 1, v4
	v_cmp_le_u32_e32 vcc, s24, v7
	v_cndmask_b32_e32 v116, v4, v8, vcc
.LBB0_6:                                ;   in Loop: Header=BB0_2 Depth=1
	s_or_b64 exec, exec, s[0:1]
	v_mul_lo_u32 v4, v117, s24
	v_mul_lo_u32 v9, v116, s25
	v_mad_u64_u32 v[7:8], s[0:1], v116, s24, 0
	s_load_dwordx2 s[0:1], s[6:7], 0x0
	s_load_dwordx2 s[24:25], s[2:3], 0x0
	v_add3_u32 v4, v8, v9, v4
	v_sub_co_u32_e32 v5, vcc, v5, v7
	v_subb_co_u32_e32 v4, vcc, v6, v4, vcc
	s_waitcnt lgkmcnt(0)
	v_mul_lo_u32 v6, s0, v4
	v_mul_lo_u32 v7, s1, v5
	v_mad_u64_u32 v[1:2], s[0:1], s0, v5, v[1:2]
	v_mul_lo_u32 v4, s24, v4
	v_mul_lo_u32 v8, s25, v5
	v_mad_u64_u32 v[112:113], s[0:1], s24, v5, v[112:113]
	s_add_u32 s22, s22, 1
	s_addc_u32 s23, s23, 0
	s_add_u32 s2, s2, 8
	v_add3_u32 v113, v8, v113, v4
	s_addc_u32 s3, s3, 0
	v_mov_b32_e32 v4, s14
	s_add_u32 s6, s6, 8
	v_mov_b32_e32 v5, s15
	s_addc_u32 s7, s7, 0
	v_cmp_ge_u64_e32 vcc, s[22:23], v[4:5]
	s_add_u32 s20, s20, 8
	v_add3_u32 v2, v7, v2, v6
	s_addc_u32 s21, s21, 0
	s_cbranch_vccnz .LBB0_9
; %bb.7:                                ;   in Loop: Header=BB0_2 Depth=1
	v_mov_b32_e32 v5, v116
	v_mov_b32_e32 v6, v117
	s_branch .LBB0_2
.LBB0_8:
	v_mov_b32_e32 v113, v2
	v_mov_b32_e32 v117, v6
	;; [unrolled: 1-line block ×4, first 2 shown]
.LBB0_9:
	s_load_dwordx2 s[2:3], s[4:5], 0x28
	s_lshl_b64 s[6:7], s[14:15], 3
	s_add_u32 s4, s18, s6
	s_addc_u32 s5, s19, s7
                                        ; implicit-def: $vgpr114
                                        ; implicit-def: $vgpr4_vgpr5
	s_waitcnt lgkmcnt(0)
	v_cmp_gt_u64_e64 s[0:1], s[2:3], v[116:117]
	v_cmp_le_u64_e32 vcc, s[2:3], v[116:117]
	s_and_saveexec_b64 s[2:3], vcc
	s_xor_b64 s[2:3], exec, s[2:3]
; %bb.10:
	s_mov_b32 s14, 0x5050506
	v_mul_hi_u32 v1, v0, s14
	v_mov_b32_e32 v115, 0
	v_mul_u32_u24_e32 v1, 51, v1
	v_sub_u32_e32 v114, v0, v1
	v_mov_b32_e32 v4, v114
	v_mov_b32_e32 v5, v115
                                        ; implicit-def: $vgpr0
                                        ; implicit-def: $vgpr1_vgpr2
; %bb.11:
	s_or_saveexec_b64 s[2:3], s[2:3]
	s_load_dwordx2 s[4:5], s[4:5], 0x0
	s_xor_b64 exec, exec, s[2:3]
	s_cbranch_execz .LBB0_15
; %bb.12:
	s_add_u32 s6, s16, s6
	s_addc_u32 s7, s17, s7
	s_load_dwordx2 s[6:7], s[6:7], 0x0
	s_mov_b32 s14, 0x5050506
	v_mul_hi_u32 v5, v0, s14
	v_lshlrev_b64 v[1:2], 4, v[1:2]
	v_mov_b32_e32 v115, 0
	s_waitcnt lgkmcnt(0)
	v_mul_lo_u32 v6, s7, v116
	v_mul_lo_u32 v7, s6, v117
	v_mad_u64_u32 v[3:4], s[6:7], s6, v116, 0
	v_mul_u32_u24_e32 v5, 51, v5
	v_sub_u32_e32 v114, v0, v5
	v_add3_u32 v4, v4, v7, v6
	v_lshlrev_b64 v[3:4], 4, v[3:4]
	v_mov_b32_e32 v0, s9
	v_add_co_u32_e32 v3, vcc, s8, v3
	v_addc_co_u32_e32 v0, vcc, v0, v4, vcc
	v_add_co_u32_e32 v1, vcc, v3, v1
	v_addc_co_u32_e32 v0, vcc, v0, v2, vcc
	v_lshlrev_b32_e32 v70, 4, v114
	v_add_co_u32_e32 v42, vcc, v1, v70
	v_addc_co_u32_e32 v43, vcc, 0, v0, vcc
	s_movk_i32 s6, 0x1000
	v_add_co_u32_e32 v66, vcc, s6, v42
	v_addc_co_u32_e32 v67, vcc, 0, v43, vcc
	s_movk_i32 s6, 0x2000
	v_add_co_u32_e32 v68, vcc, s6, v42
	global_load_dwordx4 v[2:5], v[42:43], off
	global_load_dwordx4 v[6:9], v[42:43], off offset:816
	global_load_dwordx4 v[10:13], v[42:43], off offset:1632
	;; [unrolled: 1-line block ×9, first 2 shown]
	v_addc_co_u32_e32 v69, vcc, 0, v43, vcc
	global_load_dwordx4 v[42:45], v[66:67], off offset:4064
	global_load_dwordx4 v[46:49], v[68:69], off offset:784
	;; [unrolled: 1-line block ×6, first 2 shown]
	v_add_u32_e32 v66, 0, v70
	v_cmp_eq_u32_e32 vcc, 50, v114
	s_waitcnt vmcnt(15)
	ds_write_b128 v66, v[2:5]
	s_waitcnt vmcnt(14)
	ds_write_b128 v66, v[6:9] offset:816
	s_waitcnt vmcnt(13)
	ds_write_b128 v66, v[10:13] offset:1632
	;; [unrolled: 2-line block ×15, first 2 shown]
	v_mov_b32_e32 v4, v114
	v_mov_b32_e32 v5, v115
	s_and_saveexec_b64 s[6:7], vcc
	s_cbranch_execz .LBB0_14
; %bb.13:
	v_add_co_u32_e32 v1, vcc, 0x3000, v1
	v_addc_co_u32_e32 v2, vcc, 0, v0, vcc
	global_load_dwordx4 v[0:3], v[1:2], off offset:768
	v_mov_b32_e32 v4, 50
	v_mov_b32_e32 v5, 0
	;; [unrolled: 1-line block ×3, first 2 shown]
	s_waitcnt vmcnt(0)
	ds_write_b128 v115, v[0:3] offset:13056
.LBB0_14:
	s_or_b64 exec, exec, s[6:7]
.LBB0_15:
	s_or_b64 exec, exec, s[2:3]
	v_lshlrev_b32_e32 v0, 4, v114
	v_add_u32_e32 v220, 0, v0
	s_waitcnt lgkmcnt(0)
	; wave barrier
	s_waitcnt lgkmcnt(0)
	v_sub_u32_e32 v10, 0, v0
	ds_read_b64 v[6:7], v220
	ds_read_b64 v[8:9], v10 offset:13056
	s_add_u32 s6, s12, 0x31f0
	v_lshlrev_b64 v[218:219], 4, v[4:5]
	s_addc_u32 s7, s13, 0
	v_cmp_ne_u32_e32 vcc, 0, v114
	s_waitcnt lgkmcnt(0)
	v_add_f64 v[0:1], v[6:7], v[8:9]
	v_add_f64 v[2:3], v[6:7], -v[8:9]
	s_and_saveexec_b64 s[2:3], vcc
	s_xor_b64 s[2:3], exec, s[2:3]
	s_cbranch_execz .LBB0_17
; %bb.16:
	v_mov_b32_e32 v1, s7
	v_add_co_u32_e32 v0, vcc, s6, v218
	v_addc_co_u32_e32 v1, vcc, v1, v219, vcc
	global_load_dwordx4 v[2:5], v[0:1], off
	ds_read_b64 v[0:1], v10 offset:13064
	ds_read_b64 v[11:12], v220 offset:8
	v_add_f64 v[13:14], v[6:7], v[8:9]
	v_add_f64 v[8:9], v[6:7], -v[8:9]
	s_waitcnt lgkmcnt(0)
	v_add_f64 v[15:16], v[0:1], v[11:12]
	v_add_f64 v[0:1], v[11:12], -v[0:1]
	s_waitcnt vmcnt(0)
	v_fma_f64 v[6:7], -v[8:9], v[4:5], v[13:14]
	v_fma_f64 v[11:12], v[15:16], v[4:5], -v[0:1]
	v_fma_f64 v[13:14], v[8:9], v[4:5], v[13:14]
	v_fma_f64 v[17:18], v[15:16], v[4:5], v[0:1]
	;; [unrolled: 1-line block ×4, first 2 shown]
	v_fma_f64 v[0:1], -v[15:16], v[2:3], v[13:14]
	v_fma_f64 v[2:3], v[8:9], v[2:3], v[17:18]
	ds_write_b128 v10, v[4:7] offset:13056
.LBB0_17:
	s_andn2_saveexec_b64 s[2:3], s[2:3]
	s_cbranch_execz .LBB0_19
; %bb.18:
	v_mov_b32_e32 v8, 0
	ds_read_b128 v[4:7], v8 offset:6528
	s_waitcnt lgkmcnt(0)
	v_add_f64 v[4:5], v[4:5], v[4:5]
	v_mul_f64 v[6:7], v[6:7], -2.0
	ds_write_b128 v8, v[4:7] offset:6528
.LBB0_19:
	s_or_b64 exec, exec, s[2:3]
	v_mov_b32_e32 v115, 0
	v_lshlrev_b64 v[120:121], 4, v[114:115]
	v_mov_b32_e32 v4, s7
	v_add_co_u32_e32 v23, vcc, s6, v120
	v_addc_co_u32_e32 v24, vcc, v4, v121, vcc
	global_load_dwordx4 v[4:7], v[23:24], off offset:816
	global_load_dwordx4 v[11:14], v[23:24], off offset:1632
	ds_write_b128 v220, v[0:3]
	ds_read_b128 v[0:3], v220 offset:816
	ds_read_b128 v[15:18], v10 offset:12240
	global_load_dwordx4 v[19:22], v[23:24], off offset:2448
	s_movk_i32 s2, 0x1000
	s_mov_b32 s14, 0x5d8e7cdc
	s_mov_b32 s15, 0xbfd71e95
	s_waitcnt lgkmcnt(0)
	v_add_f64 v[8:9], v[0:1], v[15:16]
	v_add_f64 v[25:26], v[17:18], v[2:3]
	v_add_f64 v[15:16], v[0:1], -v[15:16]
	v_add_f64 v[0:1], v[2:3], -v[17:18]
	s_mov_b32 s16, 0x2a9d6da3
	s_mov_b32 s17, 0xbfe58eea
	;; [unrolled: 1-line block ×28, first 2 shown]
	s_waitcnt vmcnt(2)
	v_fma_f64 v[2:3], v[15:16], v[6:7], v[8:9]
	v_fma_f64 v[17:18], v[25:26], v[6:7], v[0:1]
	v_fma_f64 v[8:9], -v[15:16], v[6:7], v[8:9]
	v_fma_f64 v[27:28], v[25:26], v[6:7], -v[0:1]
	v_fma_f64 v[0:1], -v[25:26], v[4:5], v[2:3]
	v_fma_f64 v[2:3], v[15:16], v[4:5], v[17:18]
	v_fma_f64 v[6:7], v[25:26], v[4:5], v[8:9]
	;; [unrolled: 1-line block ×3, first 2 shown]
	ds_write_b128 v220, v[0:3] offset:816
	ds_write_b128 v10, v[6:9] offset:12240
	ds_read_b128 v[0:3], v220 offset:1632
	ds_read_b128 v[4:7], v10 offset:11424
	global_load_dwordx4 v[15:18], v[23:24], off offset:3264
	s_waitcnt lgkmcnt(0)
	v_add_f64 v[8:9], v[0:1], v[4:5]
	v_add_f64 v[25:26], v[6:7], v[2:3]
	v_add_f64 v[27:28], v[0:1], -v[4:5]
	v_add_f64 v[0:1], v[2:3], -v[6:7]
	s_waitcnt vmcnt(2)
	v_fma_f64 v[2:3], v[27:28], v[13:14], v[8:9]
	v_fma_f64 v[4:5], v[25:26], v[13:14], v[0:1]
	v_fma_f64 v[6:7], -v[27:28], v[13:14], v[8:9]
	v_fma_f64 v[8:9], v[25:26], v[13:14], -v[0:1]
	v_fma_f64 v[0:1], -v[25:26], v[11:12], v[2:3]
	v_fma_f64 v[2:3], v[27:28], v[11:12], v[4:5]
	v_fma_f64 v[4:5], v[25:26], v[11:12], v[6:7]
	;; [unrolled: 1-line block ×3, first 2 shown]
	ds_write_b128 v220, v[0:3] offset:1632
	ds_write_b128 v10, v[4:7] offset:11424
	ds_read_b128 v[0:3], v220 offset:2448
	ds_read_b128 v[4:7], v10 offset:10608
	global_load_dwordx4 v[11:14], v[23:24], off offset:4080
	s_waitcnt lgkmcnt(0)
	v_add_f64 v[8:9], v[0:1], v[4:5]
	v_add_f64 v[25:26], v[6:7], v[2:3]
	v_add_f64 v[27:28], v[0:1], -v[4:5]
	v_add_f64 v[0:1], v[2:3], -v[6:7]
	s_waitcnt vmcnt(2)
	v_fma_f64 v[2:3], v[27:28], v[21:22], v[8:9]
	v_fma_f64 v[4:5], v[25:26], v[21:22], v[0:1]
	v_fma_f64 v[6:7], -v[27:28], v[21:22], v[8:9]
	v_fma_f64 v[8:9], v[25:26], v[21:22], -v[0:1]
	v_fma_f64 v[0:1], -v[25:26], v[19:20], v[2:3]
	v_fma_f64 v[2:3], v[27:28], v[19:20], v[4:5]
	v_fma_f64 v[4:5], v[25:26], v[19:20], v[6:7]
	;; [unrolled: 1-line block ×3, first 2 shown]
	v_add_co_u32_e32 v8, vcc, s2, v23
	ds_write_b128 v220, v[0:3] offset:2448
	ds_write_b128 v10, v[4:7] offset:10608
	v_addc_co_u32_e32 v9, vcc, 0, v24, vcc
	ds_read_b128 v[0:3], v220 offset:3264
	ds_read_b128 v[4:7], v10 offset:9792
	global_load_dwordx4 v[19:22], v[8:9], off offset:800
	s_mov_b32 s2, 0x370991
	s_mov_b32 s3, 0x3fedd6d0
	v_cmp_gt_u32_e32 vcc, 48, v114
	s_waitcnt lgkmcnt(0)
	v_add_f64 v[23:24], v[0:1], v[4:5]
	v_add_f64 v[25:26], v[6:7], v[2:3]
	v_add_f64 v[27:28], v[0:1], -v[4:5]
	v_add_f64 v[0:1], v[2:3], -v[6:7]
	s_waitcnt vmcnt(2)
	v_fma_f64 v[2:3], v[27:28], v[17:18], v[23:24]
	v_fma_f64 v[4:5], v[25:26], v[17:18], v[0:1]
	v_fma_f64 v[6:7], -v[27:28], v[17:18], v[23:24]
	v_fma_f64 v[17:18], v[25:26], v[17:18], -v[0:1]
	v_fma_f64 v[0:1], -v[25:26], v[15:16], v[2:3]
	v_fma_f64 v[2:3], v[27:28], v[15:16], v[4:5]
	v_fma_f64 v[4:5], v[25:26], v[15:16], v[6:7]
	;; [unrolled: 1-line block ×3, first 2 shown]
	ds_write_b128 v220, v[0:3] offset:3264
	ds_write_b128 v10, v[4:7] offset:9792
	ds_read_b128 v[0:3], v220 offset:4080
	ds_read_b128 v[4:7], v10 offset:8976
	global_load_dwordx4 v[15:18], v[8:9], off offset:1616
	s_waitcnt lgkmcnt(0)
	v_add_f64 v[8:9], v[0:1], v[4:5]
	v_add_f64 v[23:24], v[6:7], v[2:3]
	v_add_f64 v[25:26], v[0:1], -v[4:5]
	v_add_f64 v[0:1], v[2:3], -v[6:7]
	s_waitcnt vmcnt(2)
	v_fma_f64 v[2:3], v[25:26], v[13:14], v[8:9]
	v_fma_f64 v[4:5], v[23:24], v[13:14], v[0:1]
	v_fma_f64 v[6:7], -v[25:26], v[13:14], v[8:9]
	v_fma_f64 v[8:9], v[23:24], v[13:14], -v[0:1]
	v_fma_f64 v[0:1], -v[23:24], v[11:12], v[2:3]
	v_fma_f64 v[2:3], v[25:26], v[11:12], v[4:5]
	v_fma_f64 v[4:5], v[23:24], v[11:12], v[6:7]
	;; [unrolled: 1-line block ×3, first 2 shown]
	ds_write_b128 v220, v[0:3] offset:4080
	ds_write_b128 v10, v[4:7] offset:8976
	ds_read_b128 v[0:3], v220 offset:4896
	ds_read_b128 v[4:7], v10 offset:8160
	s_waitcnt lgkmcnt(0)
	v_add_f64 v[8:9], v[0:1], v[4:5]
	v_add_f64 v[11:12], v[6:7], v[2:3]
	v_add_f64 v[13:14], v[0:1], -v[4:5]
	v_add_f64 v[0:1], v[2:3], -v[6:7]
	s_waitcnt vmcnt(1)
	v_fma_f64 v[2:3], v[13:14], v[21:22], v[8:9]
	v_fma_f64 v[4:5], v[11:12], v[21:22], v[0:1]
	v_fma_f64 v[6:7], -v[13:14], v[21:22], v[8:9]
	v_fma_f64 v[8:9], v[11:12], v[21:22], -v[0:1]
	v_fma_f64 v[0:1], -v[11:12], v[19:20], v[2:3]
	v_fma_f64 v[2:3], v[13:14], v[19:20], v[4:5]
	v_fma_f64 v[4:5], v[11:12], v[19:20], v[6:7]
	;; [unrolled: 1-line block ×3, first 2 shown]
	ds_write_b128 v220, v[0:3] offset:4896
	ds_write_b128 v10, v[4:7] offset:8160
	ds_read_b128 v[0:3], v220 offset:5712
	ds_read_b128 v[4:7], v10 offset:7344
	s_waitcnt lgkmcnt(0)
	v_add_f64 v[8:9], v[0:1], v[4:5]
	v_add_f64 v[11:12], v[6:7], v[2:3]
	v_add_f64 v[13:14], v[0:1], -v[4:5]
	v_add_f64 v[0:1], v[2:3], -v[6:7]
	s_waitcnt vmcnt(0)
	v_fma_f64 v[2:3], v[13:14], v[17:18], v[8:9]
	v_fma_f64 v[4:5], v[11:12], v[17:18], v[0:1]
	v_fma_f64 v[6:7], -v[13:14], v[17:18], v[8:9]
	v_fma_f64 v[8:9], v[11:12], v[17:18], -v[0:1]
	v_fma_f64 v[0:1], -v[11:12], v[15:16], v[2:3]
	v_fma_f64 v[2:3], v[13:14], v[15:16], v[4:5]
	v_fma_f64 v[4:5], v[11:12], v[15:16], v[6:7]
	;; [unrolled: 1-line block ×3, first 2 shown]
	ds_write_b128 v220, v[0:3] offset:5712
	ds_write_b128 v10, v[4:7] offset:7344
	s_waitcnt lgkmcnt(0)
	; wave barrier
	s_waitcnt lgkmcnt(0)
	s_waitcnt lgkmcnt(0)
	; wave barrier
	s_waitcnt lgkmcnt(0)
	ds_read_b128 v[4:7], v220 offset:12288
	ds_read_b128 v[68:71], v220 offset:768
	ds_read_b128 v[28:31], v220
	ds_read_b128 v[64:67], v220 offset:1536
	ds_read_b128 v[60:63], v220 offset:2304
	;; [unrolled: 1-line block ×14, first 2 shown]
	s_waitcnt lgkmcnt(14)
	v_add_f64 v[198:199], v[70:71], -v[6:7]
	v_add_f64 v[196:197], v[68:69], -v[4:5]
	v_add_f64 v[130:131], v[68:69], v[4:5]
	s_waitcnt lgkmcnt(11)
	v_add_f64 v[192:193], v[66:67], -v[10:11]
	v_add_f64 v[216:217], v[70:71], v[6:7]
	v_add_f64 v[194:195], v[64:65], -v[8:9]
	v_add_f64 v[134:135], v[64:65], v[8:9]
	v_add_f64 v[214:215], v[66:67], v[10:11]
	v_mul_f64 v[144:145], v[198:199], s[14:15]
	v_mul_f64 v[158:159], v[196:197], s[14:15]
	s_waitcnt lgkmcnt(10)
	v_add_f64 v[184:185], v[62:63], -v[14:15]
	v_add_f64 v[188:189], v[60:61], -v[12:13]
	v_mul_f64 v[146:147], v[192:193], s[16:17]
	v_mul_f64 v[156:157], v[194:195], s[16:17]
	v_add_f64 v[128:129], v[60:61], v[12:13]
	v_add_f64 v[212:213], v[62:63], v[14:15]
	v_fma_f64 v[0:1], v[130:131], s[2:3], v[144:145]
	v_fma_f64 v[2:3], v[216:217], s[2:3], -v[158:159]
	s_waitcnt lgkmcnt(7)
	v_add_f64 v[176:177], v[58:59], -v[18:19]
	v_add_f64 v[180:181], v[56:57], -v[16:17]
	v_mul_f64 v[136:137], v[184:185], s[20:21]
	v_mul_f64 v[148:149], v[188:189], s[20:21]
	v_fma_f64 v[72:73], v[134:135], s[8:9], v[146:147]
	v_fma_f64 v[74:75], v[214:215], s[8:9], -v[156:157]
	v_add_f64 v[0:1], v[28:29], v[0:1]
	v_add_f64 v[2:3], v[30:31], v[2:3]
	v_add_f64 v[126:127], v[56:57], v[16:17]
	v_add_f64 v[206:207], v[58:59], v[18:19]
	s_waitcnt lgkmcnt(6)
	v_add_f64 v[172:173], v[54:55], -v[22:23]
	v_add_f64 v[170:171], v[52:53], -v[20:21]
	v_mul_f64 v[138:139], v[176:177], s[24:25]
	v_mul_f64 v[150:151], v[180:181], s[24:25]
	v_fma_f64 v[76:77], v[128:129], s[6:7], v[136:137]
	v_fma_f64 v[78:79], v[212:213], s[6:7], -v[148:149]
	v_add_f64 v[0:1], v[72:73], v[0:1]
	v_add_f64 v[2:3], v[74:75], v[2:3]
	v_add_f64 v[124:125], v[52:53], v[20:21]
	v_add_f64 v[200:201], v[54:55], v[22:23]
	;; [unrolled: 11-line block ×5, first 2 shown]
	v_mul_f64 v[164:165], v[190:191], s[40:41]
	v_mul_f64 v[168:169], v[202:203], s[40:41]
	v_fma_f64 v[76:77], v[132:133], s[30:31], v[162:163]
	v_fma_f64 v[78:79], v[208:209], s[30:31], -v[166:167]
	v_add_f64 v[0:1], v[72:73], v[0:1]
	v_add_f64 v[2:3], v[74:75], v[2:3]
	s_waitcnt lgkmcnt(0)
	; wave barrier
	v_fma_f64 v[72:73], v[160:161], s[42:43], v[164:165]
	v_fma_f64 v[74:75], v[210:211], s[42:43], -v[168:169]
	v_add_f64 v[0:1], v[76:77], v[0:1]
	v_add_f64 v[2:3], v[78:79], v[2:3]
	;; [unrolled: 1-line block ×4, first 2 shown]
	s_and_saveexec_b64 s[34:35], vcc
	s_cbranch_execz .LBB0_21
; %bb.20:
	v_mul_f64 v[72:73], v[216:217], s[42:43]
	s_mov_b32 s53, 0x3fc7851a
	s_mov_b32 s52, s40
	v_mul_f64 v[78:79], v[214:215], s[2:3]
	v_mul_f64 v[86:87], v[212:213], s[30:31]
	v_mul_f64 v[92:93], v[198:199], s[40:41]
	s_mov_b32 s47, 0x3fe0d888
	s_mov_b32 s46, s38
	v_fma_f64 v[80:81], v[196:197], s[52:53], v[72:73]
	s_mov_b32 s49, 0x3fd71e95
	s_mov_b32 s48, s14
	v_fma_f64 v[90:91], v[194:195], s[14:15], v[78:79]
	v_mul_f64 v[88:89], v[206:207], s[8:9]
	v_fma_f64 v[94:95], v[188:189], s[46:47], v[86:87]
	v_fma_f64 v[96:97], v[130:131], s[42:43], v[92:93]
	;; [unrolled: 1-line block ×3, first 2 shown]
	v_add_f64 v[80:81], v[30:31], v[80:81]
	s_mov_b32 s57, 0x3fe58eea
	s_mov_b32 s56, s16
	v_fma_f64 v[78:79], v[194:195], s[48:49], v[78:79]
	v_fma_f64 v[100:101], v[180:181], s[16:17], v[88:89]
	v_mul_f64 v[84:85], v[200:201], s[28:29]
	v_add_f64 v[96:97], v[28:29], v[96:97]
	v_add_f64 v[72:73], v[30:31], v[72:73]
	;; [unrolled: 1-line block ×3, first 2 shown]
	v_mul_f64 v[90:91], v[192:193], s[48:49]
	v_mul_f64 v[106:107], v[176:177], s[56:57]
	v_fma_f64 v[92:93], v[130:131], s[42:43], -v[92:93]
	s_mov_b32 s55, 0x3fe9895b
	s_mov_b32 s54, s36
	v_fma_f64 v[86:87], v[188:189], s[38:39], v[86:87]
	v_add_f64 v[72:73], v[78:79], v[72:73]
	v_add_f64 v[80:81], v[94:95], v[80:81]
	v_mul_f64 v[94:95], v[184:185], s[38:39]
	v_fma_f64 v[102:103], v[134:135], s[2:3], v[90:91]
	v_mul_f64 v[82:83], v[204:205], s[6:7]
	v_mul_f64 v[98:99], v[172:173], s[36:37]
	v_fma_f64 v[108:109], v[170:171], s[54:55], v[84:85]
	v_fma_f64 v[110:111], v[126:127], s[8:9], v[106:107]
	v_fma_f64 v[90:91], v[134:135], s[2:3], -v[90:91]
	v_add_f64 v[80:81], v[100:101], v[80:81]
	v_fma_f64 v[100:101], v[128:129], s[30:31], v[94:95]
	v_add_f64 v[96:97], v[102:103], v[96:97]
	v_add_f64 v[92:93], v[28:29], v[92:93]
	s_mov_b32 s51, 0x3feca52d
	s_mov_b32 s50, s20
	v_fma_f64 v[88:89], v[180:181], s[56:57], v[88:89]
	v_add_f64 v[72:73], v[86:87], v[72:73]
	v_mul_f64 v[104:105], v[174:175], s[50:51]
	v_fma_f64 v[102:103], v[178:179], s[20:21], v[82:83]
	v_add_f64 v[96:97], v[100:101], v[96:97]
	v_add_f64 v[80:81], v[108:109], v[80:81]
	v_fma_f64 v[100:101], v[124:125], s[28:29], v[98:99]
	v_fma_f64 v[94:95], v[128:129], s[30:31], -v[94:95]
	v_add_f64 v[90:91], v[90:91], v[92:93]
	v_fma_f64 v[84:85], v[170:171], s[36:37], v[84:85]
	v_add_f64 v[72:73], v[88:89], v[72:73]
	v_mul_f64 v[74:75], v[208:209], s[26:27]
	v_add_f64 v[92:93], v[110:111], v[96:97]
	v_add_f64 v[80:81], v[102:103], v[80:81]
	v_mul_f64 v[86:87], v[182:183], s[22:23]
	v_fma_f64 v[96:97], v[122:123], s[6:7], v[104:105]
	v_fma_f64 v[102:103], v[126:127], s[8:9], -v[106:107]
	v_add_f64 v[90:91], v[94:95], v[90:91]
	s_mov_b32 s45, 0x3feec746
	s_mov_b32 s44, s22
	v_add_f64 v[92:93], v[100:101], v[92:93]
	s_mov_b32 s59, 0x3fefdd0d
	s_mov_b32 s58, s24
	v_fma_f64 v[82:83], v[178:179], s[50:51], v[82:83]
	v_add_f64 v[72:73], v[84:85], v[72:73]
	v_mul_f64 v[76:77], v[210:211], s[18:19]
	v_fma_f64 v[78:79], v[186:187], s[44:45], v[74:75]
	v_mul_f64 v[88:89], v[190:191], s[58:59]
	v_fma_f64 v[94:95], v[132:133], s[26:27], v[86:87]
	v_fma_f64 v[98:99], v[124:125], s[28:29], -v[98:99]
	v_add_f64 v[90:91], v[102:103], v[90:91]
	v_add_f64 v[92:93], v[96:97], v[92:93]
	;; [unrolled: 1-line block ×3, first 2 shown]
	v_mul_f64 v[72:73], v[130:131], s[2:3]
	v_fma_f64 v[84:85], v[202:203], s[24:25], v[76:77]
	v_add_f64 v[78:79], v[78:79], v[80:81]
	v_fma_f64 v[80:81], v[160:161], s[18:19], v[88:89]
	v_fma_f64 v[96:97], v[122:123], s[6:7], -v[104:105]
	v_add_f64 v[90:91], v[98:99], v[90:91]
	v_add_f64 v[92:93], v[94:95], v[92:93]
	v_fma_f64 v[94:95], v[186:187], s[22:23], v[74:75]
	buffer_store_dword v72, off, s[60:63], 0 ; 4-byte Folded Spill
	s_nop 0
	buffer_store_dword v73, off, s[60:63], 0 offset:4 ; 4-byte Folded Spill
	v_mul_f64 v[104:105], v[192:193], s[50:51]
	v_add_f64 v[74:75], v[84:85], v[78:79]
	v_fma_f64 v[78:79], v[132:133], s[26:27], -v[86:87]
	v_mul_f64 v[108:109], v[212:213], s[18:19]
	v_add_f64 v[84:85], v[96:97], v[90:91]
	v_add_f64 v[72:73], v[80:81], v[92:93]
	;; [unrolled: 1-line block ×3, first 2 shown]
	v_mul_f64 v[82:83], v[216:217], s[30:31]
	v_mul_f64 v[94:95], v[214:215], s[6:7]
	;; [unrolled: 1-line block ×4, first 2 shown]
	v_fma_f64 v[227:228], v[134:135], s[6:7], v[104:105]
	v_add_f64 v[78:79], v[78:79], v[84:85]
	v_mul_f64 v[84:85], v[198:199], s[38:39]
	v_fma_f64 v[229:230], v[188:189], s[58:59], v[108:109]
	v_fma_f64 v[96:97], v[196:197], s[46:47], v[82:83]
	;; [unrolled: 1-line block ×4, first 2 shown]
	v_mul_f64 v[100:101], v[200:201], s[2:3]
	v_mul_f64 v[231:232], v[176:177], s[54:55]
	v_fma_f64 v[233:234], v[128:129], s[18:19], v[225:226]
	v_fma_f64 v[106:107], v[130:131], s[30:31], v[84:85]
	v_fma_f64 v[84:85], v[130:131], s[30:31], -v[84:85]
	v_add_f64 v[96:97], v[30:31], v[96:97]
	v_fma_f64 v[94:95], v[194:195], s[50:51], v[94:95]
	v_add_f64 v[82:83], v[30:31], v[82:83]
	v_mul_f64 v[90:91], v[204:205], s[42:43]
	v_fma_f64 v[223:224], v[170:171], s[48:49], v[100:101]
	v_fma_f64 v[104:105], v[134:135], s[6:7], -v[104:105]
	v_add_f64 v[106:107], v[28:29], v[106:107]
	v_add_f64 v[84:85], v[28:29], v[84:85]
	;; [unrolled: 1-line block ×3, first 2 shown]
	v_fma_f64 v[110:111], v[180:181], s[36:37], v[221:222]
	v_fma_f64 v[108:109], v[188:189], s[24:25], v[108:109]
	v_add_f64 v[82:83], v[94:95], v[82:83]
	v_mul_f64 v[86:87], v[208:209], s[8:9]
	v_fma_f64 v[102:103], v[178:179], s[52:53], v[90:91]
	v_add_f64 v[106:107], v[227:228], v[106:107]
	v_mul_f64 v[227:228], v[172:173], s[14:15]
	v_add_f64 v[96:97], v[229:230], v[96:97]
	v_fma_f64 v[229:230], v[126:127], s[28:29], v[231:232]
	v_add_f64 v[84:85], v[104:105], v[84:85]
	v_mul_f64 v[104:105], v[174:175], s[40:41]
	v_fma_f64 v[221:222], v[180:181], s[54:55], v[221:222]
	v_add_f64 v[82:83], v[108:109], v[82:83]
	v_add_f64 v[106:107], v[233:234], v[106:107]
	v_mul_f64 v[92:93], v[210:211], s[26:27]
	v_add_f64 v[94:95], v[110:111], v[96:97]
	v_fma_f64 v[96:97], v[128:129], s[18:19], -v[225:226]
	v_fma_f64 v[110:111], v[124:125], s[2:3], v[227:228]
	v_fma_f64 v[98:99], v[186:187], s[16:17], v[86:87]
	v_fma_f64 v[108:109], v[126:127], s[28:29], -v[231:232]
	v_fma_f64 v[100:101], v[170:171], s[14:15], v[100:101]
	v_add_f64 v[106:107], v[229:230], v[106:107]
	v_add_f64 v[82:83], v[221:222], v[82:83]
	;; [unrolled: 1-line block ×4, first 2 shown]
	v_mul_f64 v[96:97], v[182:183], s[56:57]
	v_fma_f64 v[223:224], v[122:123], s[42:43], v[104:105]
	v_fma_f64 v[76:77], v[202:203], s[58:59], v[76:77]
	v_fma_f64 v[88:89], v[160:161], s[18:19], -v[88:89]
	v_add_f64 v[106:107], v[110:111], v[106:107]
	v_fma_f64 v[90:91], v[178:179], s[40:41], v[90:91]
	v_add_f64 v[94:95], v[102:103], v[94:95]
	v_fma_f64 v[102:103], v[124:125], s[2:3], -v[227:228]
	v_add_f64 v[84:85], v[108:109], v[84:85]
	v_fma_f64 v[110:111], v[132:133], s[8:9], v[96:97]
	v_add_f64 v[82:83], v[100:101], v[82:83]
	v_fma_f64 v[100:101], v[202:203], s[44:45], v[92:93]
	v_add_f64 v[106:107], v[223:224], v[106:107]
	v_mul_f64 v[108:109], v[190:191], s[22:23]
	v_add_f64 v[94:95], v[98:99], v[94:95]
	v_mul_f64 v[221:222], v[214:215], s[26:27]
	;; [unrolled: 2-line block ×3, first 2 shown]
	v_add_f64 v[90:91], v[90:91], v[82:83]
	v_add_f64 v[82:83], v[76:77], v[80:81]
	;; [unrolled: 1-line block ×5, first 2 shown]
	v_mul_f64 v[100:101], v[216:217], s[28:29]
	v_mul_f64 v[106:107], v[198:199], s[36:37]
	v_fma_f64 v[98:99], v[160:161], s[26:27], v[108:109]
	v_fma_f64 v[88:89], v[202:203], s[22:23], v[92:93]
	v_fma_f64 v[92:93], v[160:161], s[26:27], -v[108:109]
	v_mul_f64 v[108:109], v[212:213], s[2:3]
	v_fma_f64 v[235:236], v[194:195], s[22:23], v[221:222]
	v_mul_f64 v[237:238], v[184:185], s[14:15]
	v_fma_f64 v[225:226], v[196:197], s[54:55], v[100:101]
	v_fma_f64 v[231:232], v[130:131], s[28:29], v[106:107]
	;; [unrolled: 1-line block ×3, first 2 shown]
	v_fma_f64 v[106:107], v[130:131], s[28:29], -v[106:107]
	v_fma_f64 v[239:240], v[134:135], s[26:27], v[229:230]
	v_fma_f64 v[221:222], v[194:195], s[44:45], v[221:222]
	v_fma_f64 v[229:230], v[134:135], s[26:27], -v[229:230]
	v_add_f64 v[76:77], v[98:99], v[102:103]
	v_add_f64 v[225:226], v[30:31], v[225:226]
	;; [unrolled: 1-line block ×5, first 2 shown]
	v_mul_f64 v[102:103], v[206:207], s[30:31]
	v_fma_f64 v[233:234], v[188:189], s[48:49], v[108:109]
	v_fma_f64 v[241:242], v[128:129], s[2:3], v[237:238]
	;; [unrolled: 1-line block ×3, first 2 shown]
	v_add_f64 v[225:226], v[235:236], v[225:226]
	v_mul_f64 v[235:236], v[176:177], s[38:39]
	v_add_f64 v[231:232], v[239:240], v[231:232]
	v_add_f64 v[100:101], v[221:222], v[100:101]
	v_fma_f64 v[221:222], v[128:129], s[2:3], -v[237:238]
	v_add_f64 v[106:107], v[229:230], v[106:107]
	v_mul_f64 v[98:99], v[200:201], s[18:19]
	v_fma_f64 v[227:228], v[180:181], s[46:47], v[102:103]
	v_add_f64 v[225:226], v[233:234], v[225:226]
	v_mul_f64 v[229:230], v[172:173], s[58:59]
	v_fma_f64 v[233:234], v[126:127], s[30:31], v[235:236]
	v_add_f64 v[231:232], v[241:242], v[231:232]
	v_fma_f64 v[102:103], v[180:181], s[38:39], v[102:103]
	v_add_f64 v[100:101], v[108:109], v[100:101]
	v_fma_f64 v[108:109], v[126:127], s[30:31], -v[235:236]
	v_add_f64 v[106:107], v[221:222], v[106:107]
	v_fma_f64 v[86:87], v[186:187], s[56:57], v[86:87]
	v_mul_f64 v[94:95], v[204:205], s[8:9]
	v_fma_f64 v[223:224], v[170:171], s[24:25], v[98:99]
	v_add_f64 v[221:222], v[227:228], v[225:226]
	v_mul_f64 v[225:226], v[174:175], s[16:17]
	v_fma_f64 v[227:228], v[124:125], s[18:19], v[229:230]
	v_add_f64 v[231:232], v[233:234], v[231:232]
	v_fma_f64 v[98:99], v[170:171], s[58:59], v[98:99]
	v_add_f64 v[100:101], v[102:103], v[100:101]
	v_fma_f64 v[102:103], v[124:125], s[18:19], -v[229:230]
	v_add_f64 v[106:107], v[108:109], v[106:107]
	v_fma_f64 v[104:105], v[122:123], s[42:43], -v[104:105]
	v_add_f64 v[86:87], v[86:87], v[90:91]
	v_mul_f64 v[90:91], v[208:209], s[42:43]
	v_fma_f64 v[110:111], v[178:179], s[56:57], v[94:95]
	v_add_f64 v[108:109], v[223:224], v[221:222]
	v_mul_f64 v[221:222], v[182:183], s[40:41]
	v_fma_f64 v[223:224], v[122:123], s[8:9], v[225:226]
	v_add_f64 v[227:228], v[227:228], v[231:232]
	v_fma_f64 v[94:95], v[178:179], s[16:17], v[94:95]
	v_add_f64 v[98:99], v[98:99], v[100:101]
	v_fma_f64 v[100:101], v[122:123], s[8:9], -v[225:226]
	v_add_f64 v[102:103], v[102:103], v[106:107]
	v_fma_f64 v[96:97], v[132:133], s[8:9], -v[96:97]
	v_add_f64 v[84:85], v[104:105], v[84:85]
	v_fma_f64 v[104:105], v[186:187], s[52:53], v[90:91]
	v_add_f64 v[106:107], v[110:111], v[108:109]
	v_mul_f64 v[108:109], v[190:191], s[50:51]
	v_fma_f64 v[110:111], v[132:133], s[42:43], v[221:222]
	v_add_f64 v[223:224], v[223:224], v[227:228]
	v_add_f64 v[94:95], v[94:95], v[98:99]
	v_fma_f64 v[98:99], v[132:133], s[42:43], -v[221:222]
	v_add_f64 v[100:101], v[100:101], v[102:103]
	v_add_f64 v[84:85], v[96:97], v[84:85]
	v_fma_f64 v[90:91], v[186:187], s[40:41], v[90:91]
	v_add_f64 v[104:105], v[104:105], v[106:107]
	v_fma_f64 v[106:107], v[160:161], s[6:7], v[108:109]
	v_add_f64 v[110:111], v[110:111], v[223:224]
	v_fma_f64 v[108:109], v[160:161], s[6:7], -v[108:109]
	v_mul_f64 v[223:224], v[212:213], s[8:9]
	v_add_f64 v[98:99], v[98:99], v[100:101]
	v_mul_f64 v[100:101], v[216:217], s[26:27]
	v_add_f64 v[94:95], v[90:91], v[94:95]
	v_add_f64 v[90:91], v[88:89], v[86:87]
	;; [unrolled: 1-line block ×4, first 2 shown]
	v_mul_f64 v[106:107], v[198:199], s[22:23]
	v_mul_f64 v[229:230], v[192:193], s[46:47]
	v_add_f64 v[92:93], v[108:109], v[98:99]
	v_mul_f64 v[98:99], v[214:215], s[30:31]
	v_fma_f64 v[108:109], v[196:197], s[44:45], v[100:101]
	v_fma_f64 v[100:101], v[196:197], s[22:23], v[100:101]
	v_mul_f64 v[96:97], v[210:211], s[6:7]
	v_mul_f64 v[233:234], v[206:207], s[6:7]
	v_fma_f64 v[231:232], v[130:131], s[26:27], v[106:107]
	v_fma_f64 v[237:238], v[188:189], s[16:17], v[223:224]
	v_mul_f64 v[239:240], v[184:185], s[56:57]
	v_fma_f64 v[227:228], v[194:195], s[38:39], v[98:99]
	v_add_f64 v[108:109], v[30:31], v[108:109]
	v_fma_f64 v[241:242], v[134:135], s[30:31], v[229:230]
	v_fma_f64 v[106:107], v[130:131], s[26:27], -v[106:107]
	v_fma_f64 v[98:99], v[194:195], s[46:47], v[98:99]
	v_add_f64 v[231:232], v[28:29], v[231:232]
	v_add_f64 v[100:101], v[30:31], v[100:101]
	v_fma_f64 v[102:103], v[202:203], s[20:21], v[96:97]
	v_fma_f64 v[96:97], v[202:203], s[50:51], v[96:97]
	v_add_f64 v[108:109], v[227:228], v[108:109]
	v_mul_f64 v[221:222], v[200:201], s[42:43]
	v_fma_f64 v[227:228], v[180:181], s[50:51], v[233:234]
	v_mul_f64 v[243:244], v[176:177], s[20:21]
	v_fma_f64 v[245:246], v[128:129], s[8:9], v[239:240]
	v_add_f64 v[231:232], v[241:242], v[231:232]
	v_fma_f64 v[229:230], v[134:135], s[30:31], -v[229:230]
	v_add_f64 v[106:107], v[28:29], v[106:107]
	v_add_f64 v[108:109], v[237:238], v[108:109]
	v_fma_f64 v[223:224], v[188:189], s[56:57], v[223:224]
	v_add_f64 v[98:99], v[98:99], v[100:101]
	v_add_f64 v[94:95], v[96:97], v[94:95]
	v_mul_f64 v[96:97], v[204:205], s[18:19]
	v_fma_f64 v[235:236], v[170:171], s[52:53], v[221:222]
	v_mul_f64 v[100:101], v[172:173], s[40:41]
	v_fma_f64 v[237:238], v[126:127], s[6:7], v[243:244]
	v_add_f64 v[231:232], v[245:246], v[231:232]
	v_add_f64 v[108:109], v[227:228], v[108:109]
	v_fma_f64 v[227:228], v[128:129], s[8:9], -v[239:240]
	v_add_f64 v[106:107], v[229:230], v[106:107]
	v_fma_f64 v[229:230], v[180:181], s[20:21], v[233:234]
	v_add_f64 v[98:99], v[223:224], v[98:99]
	v_add_f64 v[86:87], v[102:103], v[104:105]
	v_mul_f64 v[102:103], v[208:209], s[2:3]
	v_fma_f64 v[225:226], v[178:179], s[24:25], v[96:97]
	v_mul_f64 v[223:224], v[174:175], s[58:59]
	v_fma_f64 v[233:234], v[124:125], s[42:43], v[100:101]
	v_add_f64 v[231:232], v[237:238], v[231:232]
	v_add_f64 v[108:109], v[235:236], v[108:109]
	v_fma_f64 v[235:236], v[126:127], s[6:7], -v[243:244]
	v_add_f64 v[106:107], v[227:228], v[106:107]
	v_fma_f64 v[221:222], v[170:171], s[40:41], v[221:222]
	v_add_f64 v[98:99], v[229:230], v[98:99]
	v_fma_f64 v[110:111], v[186:187], s[48:49], v[102:103]
	v_mul_f64 v[227:228], v[182:183], s[14:15]
	v_fma_f64 v[229:230], v[122:123], s[18:19], v[223:224]
	v_add_f64 v[231:232], v[233:234], v[231:232]
	v_add_f64 v[108:109], v[225:226], v[108:109]
	v_fma_f64 v[100:101], v[124:125], s[42:43], -v[100:101]
	v_add_f64 v[106:107], v[235:236], v[106:107]
	v_fma_f64 v[96:97], v[178:179], s[58:59], v[96:97]
	v_add_f64 v[98:99], v[221:222], v[98:99]
	v_mul_f64 v[104:105], v[210:211], s[28:29]
	v_mul_f64 v[221:222], v[190:191], s[36:37]
	v_fma_f64 v[225:226], v[132:133], s[2:3], v[227:228]
	v_add_f64 v[229:230], v[229:230], v[231:232]
	v_fma_f64 v[223:224], v[122:123], s[18:19], -v[223:224]
	v_add_f64 v[100:101], v[100:101], v[106:107]
	v_fma_f64 v[102:103], v[186:187], s[14:15], v[102:103]
	v_add_f64 v[96:97], v[96:97], v[98:99]
	v_add_f64 v[98:99], v[110:111], v[108:109]
	v_mul_f64 v[110:111], v[216:217], s[18:19]
	v_fma_f64 v[231:232], v[202:203], s[54:55], v[104:105]
	v_fma_f64 v[106:107], v[160:161], s[28:29], v[221:222]
	v_add_f64 v[108:109], v[225:226], v[229:230]
	v_fma_f64 v[225:226], v[132:133], s[2:3], -v[227:228]
	v_add_f64 v[100:101], v[223:224], v[100:101]
	v_mul_f64 v[223:224], v[198:199], s[24:25]
	v_mul_f64 v[227:228], v[214:215], s[42:43]
	v_fma_f64 v[229:230], v[196:197], s[58:59], v[110:111]
	v_fma_f64 v[104:105], v[202:203], s[36:37], v[104:105]
	v_add_f64 v[102:103], v[102:103], v[96:97]
	v_add_f64 v[98:99], v[231:232], v[98:99]
	v_fma_f64 v[221:222], v[160:161], s[28:29], -v[221:222]
	v_add_f64 v[100:101], v[225:226], v[100:101]
	v_add_f64 v[96:97], v[106:107], v[108:109]
	v_mul_f64 v[106:107], v[212:213], s[26:27]
	v_mul_f64 v[108:109], v[192:193], s[40:41]
	v_fma_f64 v[225:226], v[130:131], s[18:19], v[223:224]
	v_fma_f64 v[231:232], v[194:195], s[52:53], v[227:228]
	v_add_f64 v[229:230], v[30:31], v[229:230]
	v_add_f64 v[70:71], v[30:31], v[70:71]
	;; [unrolled: 1-line block ×5, first 2 shown]
	v_mul_f64 v[104:105], v[206:207], s[2:3]
	v_mul_f64 v[221:222], v[184:185], s[44:45]
	v_fma_f64 v[233:234], v[134:135], s[42:43], v[108:109]
	v_add_f64 v[225:226], v[28:29], v[225:226]
	v_fma_f64 v[235:236], v[188:189], s[22:23], v[106:107]
	v_add_f64 v[229:230], v[231:232], v[229:230]
	v_add_f64 v[66:67], v[70:71], v[66:67]
	v_add_f64 v[64:65], v[68:69], v[64:65]
	v_mul_f64 v[239:240], v[200:201], s[6:7]
	v_mul_f64 v[241:242], v[176:177], s[48:49]
	v_fma_f64 v[243:244], v[128:129], s[26:27], v[221:222]
	v_add_f64 v[225:226], v[233:234], v[225:226]
	v_fma_f64 v[233:234], v[180:181], s[14:15], v[104:105]
	v_add_f64 v[229:230], v[235:236], v[229:230]
	v_add_f64 v[62:63], v[66:67], v[62:63]
	;; [unrolled: 1-line block ×3, first 2 shown]
	v_fma_f64 v[110:111], v[196:197], s[24:25], v[110:111]
	v_mul_f64 v[245:246], v[204:205], s[30:31]
	v_fma_f64 v[247:248], v[170:171], s[50:51], v[239:240]
	v_fma_f64 v[249:250], v[126:127], s[2:3], v[241:242]
	v_add_f64 v[225:226], v[243:244], v[225:226]
	v_mul_f64 v[243:244], v[172:173], s[20:21]
	v_add_f64 v[229:230], v[233:234], v[229:230]
	v_add_f64 v[58:59], v[62:63], v[58:59]
	;; [unrolled: 1-line block ×3, first 2 shown]
	v_mul_f64 v[237:238], v[208:209], s[28:29]
	v_fma_f64 v[227:228], v[194:195], s[40:41], v[227:228]
	v_add_f64 v[110:111], v[30:31], v[110:111]
	v_fma_f64 v[223:224], v[130:131], s[18:19], -v[223:224]
	v_mul_f64 v[233:234], v[174:175], s[38:39]
	v_fma_f64 v[251:252], v[178:179], s[46:47], v[245:246]
	v_add_f64 v[225:226], v[249:250], v[225:226]
	v_fma_f64 v[249:250], v[124:125], s[6:7], v[243:244]
	v_add_f64 v[229:230], v[247:248], v[229:230]
	v_add_f64 v[52:53], v[62:63], v[52:53]
	v_mul_f64 v[231:232], v[210:211], s[8:9]
	v_mul_f64 v[247:248], v[182:183], s[54:55]
	v_fma_f64 v[108:109], v[134:135], s[42:43], -v[108:109]
	v_add_f64 v[223:224], v[28:29], v[223:224]
	v_add_f64 v[110:111], v[227:228], v[110:111]
	v_fma_f64 v[227:228], v[186:187], s[36:37], v[237:238]
	v_fma_f64 v[106:107], v[188:189], s[44:45], v[106:107]
	v_add_f64 v[225:226], v[249:250], v[225:226]
	v_fma_f64 v[249:250], v[122:123], s[30:31], v[233:234]
	v_add_f64 v[229:230], v[251:252], v[229:230]
	v_add_f64 v[48:49], v[52:53], v[48:49]
	v_fma_f64 v[235:236], v[202:203], s[16:17], v[231:232]
	v_mul_f64 v[251:252], v[190:191], s[56:57]
	v_add_f64 v[108:109], v[108:109], v[223:224]
	v_fma_f64 v[223:224], v[132:133], s[28:29], v[247:248]
	v_fma_f64 v[104:105], v[180:181], s[48:49], v[104:105]
	v_fma_f64 v[221:222], v[128:129], s[26:27], -v[221:222]
	v_add_f64 v[106:107], v[106:107], v[110:111]
	v_add_f64 v[110:111], v[249:250], v[225:226]
	;; [unrolled: 1-line block ×3, first 2 shown]
	v_fma_f64 v[229:230], v[170:171], s[20:21], v[239:240]
	v_fma_f64 v[239:240], v[126:127], s[2:3], -v[241:242]
	v_mul_f64 v[241:242], v[216:217], s[6:7]
	v_add_f64 v[44:45], v[48:49], v[44:45]
	v_fma_f64 v[227:228], v[160:161], s[8:9], v[251:252]
	v_add_f64 v[108:109], v[221:222], v[108:109]
	v_add_f64 v[104:105], v[104:105], v[106:107]
	;; [unrolled: 1-line block ×4, first 2 shown]
	v_mul_f64 v[225:226], v[214:215], s[28:29]
	v_fma_f64 v[235:236], v[196:197], s[50:51], v[241:242]
	v_add_f64 v[40:41], v[44:45], v[40:41]
	buffer_load_dword v44, off, s[60:63], 0 ; 4-byte Folded Reload
	buffer_load_dword v45, off, s[60:63], 0 offset:4 ; 4-byte Folded Reload
	v_fma_f64 v[221:222], v[178:179], s[38:39], v[245:246]
	v_fma_f64 v[223:224], v[124:125], s[6:7], -v[243:244]
	v_add_f64 v[108:109], v[239:240], v[108:109]
	v_add_f64 v[229:230], v[229:230], v[104:105]
	;; [unrolled: 1-line block ×3, first 2 shown]
	v_fma_f64 v[110:111], v[186:187], s[54:55], v[237:238]
	v_fma_f64 v[227:228], v[122:123], s[30:31], -v[233:234]
	v_mul_f64 v[233:234], v[212:213], s[42:43]
	v_fma_f64 v[237:238], v[194:195], s[54:55], v[225:226]
	v_add_f64 v[235:236], v[30:31], v[235:236]
	v_add_f64 v[108:109], v[223:224], v[108:109]
	;; [unrolled: 1-line block ×3, first 2 shown]
	v_fma_f64 v[223:224], v[202:203], s[56:57], v[231:232]
	v_fma_f64 v[229:230], v[132:133], s[28:29], -v[247:248]
	v_mul_f64 v[231:232], v[206:207], s[26:27]
	v_fma_f64 v[247:248], v[188:189], s[40:41], v[233:234]
	v_mul_f64 v[239:240], v[198:199], s[20:21]
	v_add_f64 v[235:236], v[237:238], v[235:236]
	v_add_f64 v[108:109], v[227:228], v[108:109]
	v_mul_f64 v[243:244], v[192:193], s[36:37]
	v_add_f64 v[110:111], v[110:111], v[221:222]
	v_fma_f64 v[221:222], v[160:161], s[8:9], -v[251:252]
	v_fma_f64 v[227:228], v[180:181], s[22:23], v[231:232]
	v_mul_f64 v[249:250], v[184:185], s[52:53]
	v_fma_f64 v[245:246], v[130:131], s[6:7], v[239:240]
	v_add_f64 v[235:236], v[247:248], v[235:236]
	v_mul_f64 v[247:248], v[200:201], s[8:9]
	v_fma_f64 v[237:238], v[134:135], s[28:29], v[243:244]
	v_add_f64 v[108:109], v[229:230], v[108:109]
	v_fma_f64 v[225:226], v[194:195], s[36:37], v[225:226]
	v_add_f64 v[110:111], v[223:224], v[110:111]
	v_mul_f64 v[223:224], v[204:205], s[2:3]
	v_add_f64 v[245:246], v[28:29], v[245:246]
	v_add_f64 v[227:228], v[227:228], v[235:236]
	v_fma_f64 v[235:236], v[196:197], s[20:21], v[241:242]
	v_mul_f64 v[229:230], v[176:177], s[44:45]
	v_fma_f64 v[241:242], v[170:171], s[16:17], v[247:248]
	v_add_f64 v[108:109], v[221:222], v[108:109]
	v_fma_f64 v[221:222], v[130:131], s[6:7], -v[239:240]
	v_fma_f64 v[233:234], v[188:189], s[52:53], v[233:234]
	v_add_f64 v[237:238], v[237:238], v[245:246]
	v_fma_f64 v[245:246], v[128:129], s[42:43], v[249:250]
	v_add_f64 v[235:236], v[30:31], v[235:236]
	v_mul_f64 v[239:240], v[172:173], s[56:57]
	v_fma_f64 v[251:252], v[126:127], s[26:27], v[229:230]
	v_add_f64 v[227:228], v[241:242], v[227:228]
	v_fma_f64 v[241:242], v[178:179], s[48:49], v[223:224]
	v_fma_f64 v[243:244], v[134:135], s[28:29], -v[243:244]
	v_add_f64 v[221:222], v[28:29], v[221:222]
	v_add_f64 v[237:238], v[245:246], v[237:238]
	;; [unrolled: 1-line block ×3, first 2 shown]
	v_mul_f64 v[245:246], v[208:209], s[18:19]
	v_fma_f64 v[231:232], v[180:181], s[44:45], v[231:232]
	v_add_f64 v[54:55], v[58:59], v[54:55]
	v_mul_f64 v[235:236], v[174:175], s[14:15]
	v_add_f64 v[227:228], v[241:242], v[227:228]
	v_add_f64 v[221:222], v[243:244], v[221:222]
	;; [unrolled: 1-line block ×4, first 2 shown]
	v_fma_f64 v[251:252], v[124:125], s[8:9], v[239:240]
	v_fma_f64 v[241:242], v[186:187], s[58:59], v[245:246]
	v_mul_f64 v[243:244], v[216:217], s[2:3]
	v_fma_f64 v[247:248], v[170:171], s[56:57], v[247:248]
	v_mul_f64 v[216:217], v[216:217], s[8:9]
	v_add_f64 v[50:51], v[54:55], v[50:51]
	v_fma_f64 v[249:250], v[128:129], s[42:43], -v[249:250]
	v_add_f64 v[225:226], v[231:232], v[225:226]
	v_add_f64 v[237:238], v[251:252], v[237:238]
	v_fma_f64 v[251:252], v[122:123], s[2:3], v[235:236]
	v_add_f64 v[227:228], v[241:242], v[227:228]
	v_mul_f64 v[241:242], v[214:215], s[8:9]
	v_mul_f64 v[214:215], v[214:215], s[18:19]
	v_add_f64 v[46:47], v[50:51], v[46:47]
	v_mul_f64 v[198:199], v[198:199], s[16:17]
	v_add_f64 v[225:226], v[247:248], v[225:226]
	v_fma_f64 v[247:248], v[196:197], s[56:57], v[216:217]
	v_add_f64 v[221:222], v[249:250], v[221:222]
	v_fma_f64 v[229:230], v[126:127], s[26:27], -v[229:230]
	v_add_f64 v[237:238], v[251:252], v[237:238]
	v_mul_f64 v[251:252], v[212:213], s[6:7]
	v_mul_f64 v[64:65], v[182:183], s[24:25]
	v_fma_f64 v[66:67], v[178:179], s[14:15], v[223:224]
	v_fma_f64 v[223:224], v[194:195], s[58:59], v[214:215]
	v_add_f64 v[247:248], v[30:31], v[247:248]
	v_mul_f64 v[212:213], v[212:213], s[28:29]
	v_add_f64 v[42:43], v[46:47], v[42:43]
	v_mul_f64 v[233:234], v[134:135], s[8:9]
	v_fma_f64 v[196:197], v[196:197], s[16:17], v[216:217]
	v_mul_f64 v[192:193], v[192:193], s[24:25]
	v_add_f64 v[158:159], v[158:159], v[243:244]
	s_waitcnt vmcnt(0)
	v_add_f64 v[44:45], v[44:45], -v[144:145]
	v_fma_f64 v[194:195], v[194:195], s[24:25], v[214:215]
	v_fma_f64 v[214:215], v[130:131], s[8:9], v[198:199]
	v_fma_f64 v[46:47], v[130:131], s[8:9], -v[198:199]
	v_add_f64 v[221:222], v[229:230], v[221:222]
	v_mul_f64 v[229:230], v[206:207], s[18:19]
	v_add_f64 v[56:57], v[66:67], v[225:226]
	v_fma_f64 v[60:61], v[132:133], s[18:19], v[64:65]
	v_fma_f64 v[66:67], v[186:187], s[24:25], v[245:246]
	v_add_f64 v[223:224], v[223:224], v[247:248]
	v_fma_f64 v[225:226], v[188:189], s[54:55], v[212:213]
	v_mul_f64 v[206:207], v[206:207], s[42:43]
	v_add_f64 v[38:39], v[42:43], v[38:39]
	v_add_f64 v[36:37], v[40:41], v[36:37]
	v_mul_f64 v[249:250], v[128:129], s[6:7]
	v_add_f64 v[196:197], v[30:31], v[196:197]
	v_fma_f64 v[188:189], v[188:189], s[36:37], v[212:213]
	v_fma_f64 v[212:213], v[134:135], s[18:19], v[192:193]
	v_fma_f64 v[130:131], v[134:135], s[18:19], -v[192:193]
	v_add_f64 v[134:135], v[156:157], v[241:242]
	v_add_f64 v[30:31], v[30:31], v[158:159]
	v_add_f64 v[144:145], v[233:234], -v[146:147]
	v_add_f64 v[40:41], v[28:29], v[44:45]
	v_add_f64 v[214:215], v[28:29], v[214:215]
	v_mul_f64 v[184:185], v[184:185], s[36:37]
	v_add_f64 v[28:29], v[28:29], v[46:47]
	v_mul_f64 v[70:71], v[200:201], s[26:27]
	v_add_f64 v[237:238], v[60:61], v[237:238]
	v_add_f64 v[60:61], v[66:67], v[56:57]
	;; [unrolled: 1-line block ×3, first 2 shown]
	v_fma_f64 v[216:217], v[180:181], s[52:53], v[206:207]
	v_mul_f64 v[200:201], v[200:201], s[30:31]
	v_add_f64 v[34:35], v[38:39], v[34:35]
	v_add_f64 v[32:33], v[36:37], v[32:33]
	v_mul_f64 v[231:232], v[126:127], s[18:19]
	v_add_f64 v[44:45], v[148:149], v[251:252]
	v_add_f64 v[30:31], v[134:135], v[30:31]
	v_add_f64 v[46:47], v[249:250], -v[136:137]
	v_add_f64 v[36:37], v[144:145], v[40:41]
	v_add_f64 v[194:195], v[194:195], v[196:197]
	v_mul_f64 v[176:177], v[176:177], s[40:41]
	v_fma_f64 v[42:43], v[128:129], s[28:29], -v[184:185]
	v_add_f64 v[28:29], v[130:131], v[28:29]
	v_add_f64 v[216:217], v[216:217], v[56:57]
	;; [unrolled: 1-line block ×3, first 2 shown]
	v_fma_f64 v[214:215], v[128:129], s[28:29], v[184:185]
	v_fma_f64 v[180:181], v[180:181], s[40:41], v[206:207]
	v_fma_f64 v[206:207], v[170:171], s[38:39], v[200:201]
	v_add_f64 v[26:27], v[34:35], v[26:27]
	v_add_f64 v[24:25], v[32:33], v[24:25]
	v_fma_f64 v[239:240], v[124:125], s[8:9], -v[239:240]
	v_mul_f64 v[68:69], v[124:125], s[26:27]
	v_add_f64 v[40:41], v[150:151], v[229:230]
	v_add_f64 v[30:31], v[44:45], v[30:31]
	v_add_f64 v[44:45], v[231:232], -v[138:139]
	v_add_f64 v[32:33], v[46:47], v[36:37]
	v_add_f64 v[188:189], v[188:189], v[194:195]
	v_mul_f64 v[172:173], v[172:173], s[46:47]
	v_fma_f64 v[38:39], v[126:127], s[42:43], -v[176:177]
	v_add_f64 v[28:29], v[42:43], v[28:29]
	v_add_f64 v[212:213], v[214:215], v[212:213]
	;; [unrolled: 1-line block ×3, first 2 shown]
	v_fma_f64 v[216:217], v[126:127], s[42:43], v[176:177]
	v_add_f64 v[22:23], v[26:27], v[22:23]
	v_add_f64 v[20:21], v[24:25], v[20:21]
	;; [unrolled: 1-line block ×3, first 2 shown]
	v_mul_f64 v[239:240], v[122:123], s[28:29]
	v_fma_f64 v[235:236], v[122:123], s[2:3], -v[235:236]
	v_mul_f64 v[253:254], v[204:205], s[28:29]
	v_add_f64 v[36:37], v[152:153], v[70:71]
	v_add_f64 v[30:31], v[40:41], v[30:31]
	v_add_f64 v[40:41], v[68:69], -v[140:141]
	v_add_f64 v[24:25], v[44:45], v[32:33]
	v_mul_f64 v[204:205], v[204:205], s[26:27]
	v_fma_f64 v[170:171], v[170:171], s[46:47], v[200:201]
	v_add_f64 v[180:181], v[180:181], v[188:189]
	v_mul_f64 v[58:59], v[174:175], s[44:45]
	v_fma_f64 v[34:35], v[124:125], s[30:31], -v[172:173]
	v_add_f64 v[26:27], v[38:39], v[28:29]
	v_fma_f64 v[62:63], v[124:125], s[30:31], v[172:173]
	v_add_f64 v[174:175], v[216:217], v[212:213]
	v_add_f64 v[18:19], v[22:23], v[18:19]
	;; [unrolled: 1-line block ×3, first 2 shown]
	v_mul_f64 v[118:119], v[132:133], s[30:31]
	v_add_f64 v[221:222], v[235:236], v[221:222]
	v_mul_f64 v[235:236], v[210:211], s[30:31]
	v_mul_f64 v[245:246], v[208:209], s[30:31]
	v_add_f64 v[32:33], v[154:155], v[253:254]
	v_add_f64 v[30:31], v[36:37], v[30:31]
	v_add_f64 v[36:37], v[239:240], -v[142:143]
	v_add_f64 v[20:21], v[40:41], v[24:25]
	v_mul_f64 v[208:209], v[208:209], s[6:7]
	v_fma_f64 v[214:215], v[178:179], s[22:23], v[204:205]
	v_fma_f64 v[178:179], v[178:179], s[44:45], v[204:205]
	v_add_f64 v[170:171], v[170:171], v[180:181]
	v_mul_f64 v[52:53], v[182:183], s[50:51]
	v_fma_f64 v[28:29], v[122:123], s[26:27], -v[58:59]
	v_add_f64 v[22:23], v[34:35], v[26:27]
	v_fma_f64 v[64:65], v[132:133], s[18:19], -v[64:65]
	v_fma_f64 v[54:55], v[122:123], s[26:27], v[58:59]
	v_add_f64 v[62:63], v[62:63], v[174:175]
	v_add_f64 v[14:15], v[18:19], v[14:15]
	;; [unrolled: 1-line block ×3, first 2 shown]
	v_mul_f64 v[66:67], v[160:161], s[42:43]
	v_fma_f64 v[223:224], v[202:203], s[46:47], v[235:236]
	v_fma_f64 v[225:226], v[202:203], s[38:39], v[235:236]
	v_mul_f64 v[235:236], v[210:211], s[42:43]
	v_add_f64 v[26:27], v[166:167], v[245:246]
	v_add_f64 v[30:31], v[32:33], v[30:31]
	v_add_f64 v[32:33], v[118:119], -v[162:163]
	v_add_f64 v[16:17], v[36:37], v[20:21]
	v_mul_f64 v[210:211], v[210:211], s[2:3]
	v_fma_f64 v[180:181], v[186:187], s[50:51], v[208:209]
	v_add_f64 v[170:171], v[178:179], v[170:171]
	v_mul_f64 v[48:49], v[190:191], s[48:49]
	v_fma_f64 v[24:25], v[132:133], s[6:7], -v[52:53]
	v_add_f64 v[18:19], v[28:29], v[22:23]
	v_add_f64 v[64:65], v[64:65], v[221:222]
	v_mul_f64 v[221:222], v[190:191], s[38:39]
	v_fma_f64 v[200:201], v[186:187], s[20:21], v[208:209]
	v_add_f64 v[188:189], v[214:215], v[206:207]
	v_fma_f64 v[50:51], v[132:133], s[6:7], v[52:53]
	v_add_f64 v[54:55], v[54:55], v[62:63]
	v_add_f64 v[10:11], v[14:15], v[10:11]
	v_add_f64 v[14:15], v[12:13], v[8:9]
	v_add_f64 v[22:23], v[168:169], v[235:236]
	v_add_f64 v[26:27], v[26:27], v[30:31]
	v_add_f64 v[28:29], v[66:67], -v[164:165]
	v_add_f64 v[30:31], v[32:33], v[16:17]
	v_fma_f64 v[62:63], v[202:203], s[48:49], v[210:211]
	v_add_f64 v[170:171], v[180:181], v[170:171]
	v_fma_f64 v[20:21], v[160:161], s[2:3], -v[48:49]
	v_add_f64 v[18:19], v[24:25], v[18:19]
	v_fma_f64 v[196:197], v[160:161], s[30:31], v[221:222]
	v_fma_f64 v[221:222], v[160:161], s[30:31], -v[221:222]
	v_fma_f64 v[194:195], v[202:203], s[14:15], v[210:211]
	v_add_f64 v[174:175], v[200:201], v[188:189]
	v_fma_f64 v[24:25], v[160:161], s[2:3], v[48:49]
	v_add_f64 v[32:33], v[50:51], v[54:55]
	v_add_f64 v[16:17], v[10:11], v[6:7]
	;; [unrolled: 1-line block ×9, first 2 shown]
	v_lshl_add_u32 v4, v114, 8, v220
	v_add_f64 v[56:57], v[223:224], v[227:228]
	v_add_f64 v[54:55], v[196:197], v[237:238]
	;; [unrolled: 1-line block ×4, first 2 shown]
	ds_write_b128 v4, v[14:17]
	ds_write_b128 v4, v[10:13] offset:16
	ds_write_b128 v4, v[6:9] offset:32
	;; [unrolled: 1-line block ×16, first 2 shown]
.LBB0_21:
	s_or_b64 exec, exec, s[34:35]
	s_movk_i32 s2, 0xf1
	v_mul_lo_u16_sdwa v4, v114, s2 dst_sel:DWORD dst_unused:UNUSED_PAD src0_sel:BYTE_0 src1_sel:DWORD
	v_add_u16_e32 v80, 0x66, v114
	v_lshrrev_b16_e32 v115, 12, v4
	v_add_u16_e32 v82, 51, v114
	v_mul_lo_u16_sdwa v81, v80, s2 dst_sel:DWORD dst_unused:UNUSED_PAD src0_sel:BYTE_0 src1_sel:DWORD
	v_mul_lo_u16_e32 v4, 17, v115
	v_mul_lo_u16_sdwa v83, v82, s2 dst_sel:DWORD dst_unused:UNUSED_PAD src0_sel:BYTE_0 src1_sel:DWORD
	v_lshrrev_b16_e32 v135, 12, v81
	v_add_u16_e32 v78, 0x99, v114
	v_sub_u16_e32 v4, v114, v4
	v_mov_b32_e32 v76, 4
	v_lshrrev_b16_e32 v133, 12, v83
	v_mul_lo_u16_e32 v12, 17, v135
	v_mul_lo_u16_sdwa v79, v78, s2 dst_sel:DWORD dst_unused:UNUSED_PAD src0_sel:BYTE_0 src1_sel:DWORD
	v_lshlrev_b32_sdwa v132, v76, v4 dst_sel:DWORD dst_unused:UNUSED_PAD src0_sel:DWORD src1_sel:BYTE_0
	v_mul_lo_u16_e32 v4, 17, v133
	v_sub_u16_e32 v12, v80, v12
	v_lshrrev_b16_e32 v137, 12, v79
	v_add_u16_e32 v75, 0xcc, v114
	v_sub_u16_e32 v4, v82, v4
	v_lshlrev_b32_sdwa v136, v76, v12 dst_sel:DWORD dst_unused:UNUSED_PAD src0_sel:DWORD src1_sel:BYTE_0
	v_mul_lo_u16_e32 v12, 17, v137
	v_mul_lo_u16_sdwa v77, v75, s2 dst_sel:DWORD dst_unused:UNUSED_PAD src0_sel:BYTE_0 src1_sel:DWORD
	v_add_u32_e32 v73, 0x132, v114
	s_waitcnt lgkmcnt(0)
	; wave barrier
	s_waitcnt lgkmcnt(0)
	v_lshlrev_b32_sdwa v134, v76, v4 dst_sel:DWORD dst_unused:UNUSED_PAD src0_sel:DWORD src1_sel:BYTE_0
	global_load_dwordx4 v[4:7], v132, s[12:13]
	global_load_dwordx4 v[8:11], v134, s[12:13]
	v_sub_u16_e32 v12, v78, v12
	v_lshrrev_b16_e32 v139, 12, v77
	s_mov_b32 s2, 0xf0f1
	v_lshlrev_b32_sdwa v138, v76, v12 dst_sel:DWORD dst_unused:UNUSED_PAD src0_sel:DWORD src1_sel:BYTE_0
	global_load_dwordx4 v[12:15], v136, s[12:13]
	global_load_dwordx4 v[16:19], v138, s[12:13]
	v_mul_lo_u16_e32 v20, 17, v139
	v_mul_u32_u24_sdwa v28, v73, s2 dst_sel:DWORD dst_unused:UNUSED_PAD src0_sel:WORD_0 src1_sel:DWORD
	v_add_u32_e32 v74, 0xff, v114
	v_sub_u16_e32 v20, v75, v20
	v_lshrrev_b32_e32 v143, 20, v28
	v_lshlrev_b32_sdwa v140, v76, v20 dst_sel:DWORD dst_unused:UNUSED_PAD src0_sel:DWORD src1_sel:BYTE_0
	v_mul_u32_u24_sdwa v20, v74, s2 dst_sel:DWORD dst_unused:UNUSED_PAD src0_sel:WORD_0 src1_sel:DWORD
	v_mul_lo_u16_e32 v28, 17, v143
	v_add_u32_e32 v72, 0x165, v114
	v_lshrrev_b32_e32 v141, 20, v20
	v_sub_u16_e32 v28, v73, v28
	v_mul_lo_u16_e32 v20, 17, v141
	v_lshlrev_b32_e32 v144, 4, v28
	v_mul_u32_u24_sdwa v28, v72, s2 dst_sel:DWORD dst_unused:UNUSED_PAD src0_sel:WORD_0 src1_sel:DWORD
	v_sub_u16_e32 v24, v74, v20
	v_lshrrev_b32_e32 v145, 20, v28
	v_lshlrev_b32_e32 v142, 4, v24
	v_mul_lo_u16_e32 v28, 17, v145
	global_load_dwordx4 v[20:23], v140, s[12:13]
	global_load_dwordx4 v[24:27], v142, s[12:13]
	v_sub_u16_e32 v32, v72, v28
	global_load_dwordx4 v[28:31], v144, s[12:13]
	v_lshlrev_b32_e32 v146, 4, v32
	global_load_dwordx4 v[32:35], v146, s[12:13]
	ds_read_b128 v[36:39], v220
	ds_read_b128 v[40:43], v220 offset:816
	ds_read_b128 v[44:47], v220 offset:6528
	;; [unrolled: 1-line block ×15, first 2 shown]
	s_waitcnt lgkmcnt(0)
	; wave barrier
	s_waitcnt lgkmcnt(0)
	v_cmp_gt_u32_e32 vcc, 17, v114
	s_waitcnt vmcnt(7)
	v_mul_f64 v[118:119], v[46:47], v[6:7]
	v_mul_f64 v[6:7], v[44:45], v[6:7]
	s_waitcnt vmcnt(6)
	v_mul_f64 v[122:123], v[50:51], v[10:11]
	v_mul_f64 v[10:11], v[48:49], v[10:11]
	;; [unrolled: 3-line block ×4, first 2 shown]
	v_fma_f64 v[44:45], v[44:45], v[4:5], -v[118:119]
	v_fma_f64 v[4:5], v[46:47], v[4:5], v[6:7]
	v_fma_f64 v[6:7], v[48:49], v[8:9], -v[122:123]
	v_fma_f64 v[46:47], v[50:51], v[8:9], v[10:11]
	;; [unrolled: 2-line block ×4, first 2 shown]
	v_add_f64 v[18:19], v[54:55], -v[50:51]
	s_waitcnt vmcnt(3)
	v_mul_f64 v[128:129], v[90:91], v[22:23]
	v_mul_f64 v[22:23], v[88:89], v[22:23]
	s_waitcnt vmcnt(2)
	v_mul_f64 v[8:9], v[92:93], v[26:27]
	s_waitcnt vmcnt(1)
	v_mul_f64 v[12:13], v[104:105], v[30:31]
	v_mul_f64 v[130:131], v[94:95], v[26:27]
	;; [unrolled: 1-line block ×3, first 2 shown]
	s_waitcnt vmcnt(0)
	v_mul_f64 v[14:15], v[110:111], v[34:35]
	v_mul_f64 v[16:17], v[108:109], v[34:35]
	v_fma_f64 v[64:65], v[88:89], v[20:21], -v[128:129]
	v_fma_f64 v[66:67], v[90:91], v[20:21], v[22:23]
	v_fma_f64 v[90:91], v[94:95], v[24:25], v[8:9]
	;; [unrolled: 1-line block ×3, first 2 shown]
	v_add_f64 v[12:13], v[40:41], -v[6:7]
	v_fma_f64 v[88:89], v[92:93], v[24:25], -v[130:131]
	v_fma_f64 v[92:93], v[104:105], v[28:29], -v[10:11]
	;; [unrolled: 1-line block ×3, first 2 shown]
	v_add_f64 v[8:9], v[36:37], -v[44:45]
	v_add_f64 v[10:11], v[38:39], -v[4:5]
	;; [unrolled: 1-line block ×3, first 2 shown]
	v_fma_f64 v[106:107], v[110:111], v[32:33], v[16:17]
	v_add_f64 v[16:17], v[52:53], -v[48:49]
	v_add_f64 v[20:21], v[56:57], -v[60:61]
	;; [unrolled: 1-line block ×3, first 2 shown]
	v_fma_f64 v[28:29], v[40:41], 2.0, -v[12:13]
	v_add_f64 v[40:41], v[68:69], -v[64:65]
	v_fma_f64 v[24:25], v[36:37], 2.0, -v[8:9]
	v_fma_f64 v[26:27], v[38:39], 2.0, -v[10:11]
	v_fma_f64 v[30:31], v[42:43], 2.0, -v[14:15]
	v_add_f64 v[42:43], v[70:71], -v[66:67]
	v_add_f64 v[44:45], v[84:85], -v[88:89]
	;; [unrolled: 1-line block ×3, first 2 shown]
	v_fma_f64 v[32:33], v[52:53], 2.0, -v[16:17]
	v_fma_f64 v[34:35], v[54:55], 2.0, -v[18:19]
	v_add_f64 v[48:49], v[96:97], -v[92:93]
	v_add_f64 v[50:51], v[98:99], -v[94:95]
	v_fma_f64 v[36:37], v[56:57], 2.0, -v[20:21]
	v_fma_f64 v[38:39], v[58:59], 2.0, -v[22:23]
	v_add_f64 v[4:5], v[100:101], -v[104:105]
	v_add_f64 v[6:7], v[102:103], -v[106:107]
	v_fma_f64 v[52:53], v[68:69], 2.0, -v[40:41]
	v_mul_u32_u24_e32 v68, 0x220, v115
	v_add3_u32 v68, 0, v68, v132
	v_fma_f64 v[54:55], v[70:71], 2.0, -v[42:43]
	ds_write_b128 v68, v[24:27]
	ds_write_b128 v68, v[8:11] offset:272
	v_mul_u32_u24_e32 v8, 0x220, v133
	v_add3_u32 v8, 0, v8, v134
	v_fma_f64 v[56:57], v[84:85], 2.0, -v[44:45]
	v_fma_f64 v[58:59], v[86:87], 2.0, -v[46:47]
	ds_write_b128 v8, v[28:31]
	ds_write_b128 v8, v[12:15] offset:272
	v_mul_u32_u24_e32 v8, 0x220, v135
	v_add3_u32 v8, 0, v8, v136
	v_fma_f64 v[60:61], v[96:97], 2.0, -v[48:49]
	;; [unrolled: 6-line block ×3, first 2 shown]
	v_fma_f64 v[66:67], v[102:103], 2.0, -v[6:7]
	ds_write_b128 v8, v[36:39]
	ds_write_b128 v8, v[20:23] offset:272
	v_mul_u32_u24_e32 v8, 0x220, v139
	v_add3_u32 v8, 0, v8, v140
	ds_write_b128 v8, v[52:55]
	ds_write_b128 v8, v[40:43] offset:272
	v_mul_u32_u24_e32 v8, 0x220, v141
	v_add3_u32 v8, 0, v8, v142
	ds_write_b128 v8, v[56:59]
	ds_write_b128 v8, v[44:47] offset:272
	v_mul_u32_u24_e32 v8, 0x220, v143
	v_add3_u32 v8, 0, v8, v144
	ds_write_b128 v8, v[60:63]
	ds_write_b128 v8, v[48:51] offset:272
	v_mul_u32_u24_e32 v8, 0x220, v145
	v_add3_u32 v8, 0, v8, v146
	ds_write_b128 v8, v[64:67]
	ds_write_b128 v8, v[4:7] offset:272
	s_waitcnt lgkmcnt(0)
	; wave barrier
	s_waitcnt lgkmcnt(0)
	ds_read_b128 v[20:23], v220
	ds_read_b128 v[24:27], v220 offset:816
	ds_read_b128 v[32:35], v220 offset:8704
	ds_read_b128 v[40:43], v220 offset:9520
	ds_read_b128 v[56:59], v220 offset:5168
	ds_read_b128 v[44:47], v220 offset:5984
	ds_read_b128 v[28:31], v220 offset:1632
	ds_read_b128 v[16:19], v220 offset:2448
	ds_read_b128 v[60:63], v220 offset:10336
	ds_read_b128 v[48:51], v220 offset:11152
	ds_read_b128 v[36:39], v220 offset:4352
	ds_read_b128 v[12:15], v220 offset:3264
	ds_read_b128 v[68:71], v220 offset:6800
	ds_read_b128 v[64:67], v220 offset:7616
	ds_read_b128 v[52:55], v220 offset:11968
                                        ; implicit-def: $vgpr10_vgpr11
	s_and_saveexec_b64 s[2:3], vcc
	s_cbranch_execz .LBB0_23
; %bb.22:
	ds_read_b128 v[4:7], v220 offset:4080
	ds_read_b128 v[0:3], v220 offset:8432
	;; [unrolled: 1-line block ×3, first 2 shown]
.LBB0_23:
	s_or_b64 exec, exec, s[2:3]
	v_subrev_u32_e32 v84, 34, v114
	v_cmp_gt_u32_e64 s[2:3], 34, v114
	v_cndmask_b32_e64 v115, v84, v114, s[2:3]
	v_lshlrev_b32_e32 v84, 1, v115
	v_mov_b32_e32 v85, 0
	v_lshlrev_b64 v[110:111], 4, v[84:85]
	v_lshrrev_b16_e32 v146, 13, v83
	v_lshrrev_b16_e32 v148, 13, v81
	v_lshrrev_b16_e32 v150, 13, v79
	v_lshrrev_b16_e32 v152, 13, v77
	v_mul_lo_u16_e32 v83, 34, v146
	v_mul_lo_u16_e32 v81, 34, v148
	;; [unrolled: 1-line block ×4, first 2 shown]
	v_mov_b32_e32 v118, s13
	v_sub_u16_e32 v147, v82, v83
	v_mov_b32_e32 v102, 5
	v_sub_u16_e32 v149, v80, v81
	v_sub_u16_e32 v151, v78, v79
	;; [unrolled: 1-line block ×3, first 2 shown]
	v_add_co_u32_e64 v110, s[2:3], s12, v110
	v_lshlrev_b32_sdwa v90, v102, v147 dst_sel:DWORD dst_unused:UNUSED_PAD src0_sel:DWORD src1_sel:BYTE_0
	v_lshlrev_b32_sdwa v80, v102, v149 dst_sel:DWORD dst_unused:UNUSED_PAD src0_sel:DWORD src1_sel:BYTE_0
	;; [unrolled: 1-line block ×4, first 2 shown]
	v_addc_co_u32_e64 v111, s[2:3], v118, v111, s[2:3]
	global_load_dwordx4 v[82:85], v90, s[12:13] offset:288
	global_load_dwordx4 v[86:89], v90, s[12:13] offset:272
	s_nop 0
	global_load_dwordx4 v[90:93], v80, s[12:13] offset:288
	global_load_dwordx4 v[94:97], v80, s[12:13] offset:272
	s_nop 0
	;; [unrolled: 3-line block ×3, first 2 shown]
	global_load_dwordx4 v[102:105], v77, s[12:13] offset:288
	global_load_dwordx4 v[106:109], v77, s[12:13] offset:272
	global_load_dwordx4 v[122:125], v[110:111], off offset:272
	global_load_dwordx4 v[126:129], v[110:111], off offset:288
	s_mov_b32 s6, 0xe8584caa
	s_mov_b32 s7, 0x3febb67a
	;; [unrolled: 1-line block ×4, first 2 shown]
	v_cmp_lt_u32_e64 s[2:3], 33, v114
	s_waitcnt lgkmcnt(0)
	; wave barrier
	s_waitcnt vmcnt(9) lgkmcnt(0)
	v_mul_f64 v[118:119], v[42:43], v[84:85]
	s_waitcnt vmcnt(8)
	v_mul_f64 v[110:111], v[58:59], v[88:89]
	v_mul_f64 v[88:89], v[56:57], v[88:89]
	v_mul_f64 v[84:85], v[40:41], v[84:85]
	s_waitcnt vmcnt(6)
	v_mul_f64 v[130:131], v[46:47], v[96:97]
	v_mul_f64 v[132:133], v[62:63], v[92:93]
	s_waitcnt vmcnt(5)
	v_mul_f64 v[136:137], v[50:51], v[80:81]
	v_mul_f64 v[80:81], v[48:49], v[80:81]
	;; [unrolled: 3-line block ×4, first 2 shown]
	v_mul_f64 v[96:97], v[44:45], v[96:97]
	v_mul_f64 v[92:93], v[60:61], v[92:93]
	;; [unrolled: 1-line block ×6, first 2 shown]
	v_fma_f64 v[56:57], v[56:57], v[86:87], -v[110:111]
	v_fma_f64 v[58:59], v[58:59], v[86:87], v[88:89]
	v_fma_f64 v[40:41], v[40:41], v[82:83], -v[118:119]
	v_fma_f64 v[42:43], v[42:43], v[82:83], v[84:85]
	v_fma_f64 v[44:45], v[44:45], v[94:95], -v[130:131]
	v_fma_f64 v[60:61], v[60:61], v[90:91], -v[132:133]
	;; [unrolled: 1-line block ×3, first 2 shown]
	v_fma_f64 v[77:78], v[50:51], v[78:79], v[80:81]
	v_fma_f64 v[36:37], v[36:37], v[122:123], -v[142:143]
	v_fma_f64 v[38:39], v[38:39], v[122:123], v[124:125]
	v_fma_f64 v[48:49], v[32:33], v[126:127], -v[144:145]
	v_fma_f64 v[50:51], v[34:35], v[126:127], v[128:129]
	v_fma_f64 v[46:47], v[46:47], v[94:95], v[96:97]
	;; [unrolled: 1-line block ×3, first 2 shown]
	v_fma_f64 v[68:69], v[68:69], v[98:99], -v[134:135]
	v_fma_f64 v[70:71], v[70:71], v[98:99], v[100:101]
	v_fma_f64 v[79:80], v[52:53], v[102:103], -v[140:141]
	v_fma_f64 v[84:85], v[54:55], v[102:103], v[104:105]
	v_add_f64 v[32:33], v[24:25], v[56:57]
	v_add_f64 v[34:35], v[56:57], v[40:41]
	v_add_f64 v[52:53], v[58:59], -v[42:43]
	v_add_f64 v[54:55], v[26:27], v[58:59]
	v_add_f64 v[58:59], v[58:59], v[42:43]
	;; [unrolled: 1-line block ×4, first 2 shown]
	v_add_f64 v[94:95], v[44:45], -v[60:61]
	v_add_f64 v[44:45], v[20:21], v[36:37]
	v_add_f64 v[98:99], v[36:37], v[48:49]
	v_add_f64 v[100:101], v[38:39], -v[50:51]
	v_add_f64 v[102:103], v[22:23], v[38:39]
	v_add_f64 v[38:39], v[38:39], v[50:51]
	v_mul_f64 v[138:139], v[66:67], v[108:109]
	v_mul_f64 v[108:109], v[64:65], v[108:109]
	v_add_f64 v[56:57], v[56:57], -v[40:41]
	v_add_f64 v[90:91], v[46:47], -v[62:63]
	v_add_f64 v[92:93], v[30:31], v[46:47]
	v_add_f64 v[46:47], v[46:47], v[62:63]
	;; [unrolled: 1-line block ×3, first 2 shown]
	v_add_f64 v[104:105], v[36:37], -v[48:49]
	v_add_f64 v[32:33], v[32:33], v[40:41]
	v_fma_f64 v[36:37], v[34:35], -0.5, v[24:25]
	v_add_f64 v[34:35], v[54:55], v[42:43]
	v_fma_f64 v[40:41], v[58:59], -0.5, v[26:27]
	v_fma_f64 v[42:43], v[98:99], -0.5, v[20:21]
	v_add_f64 v[20:21], v[44:45], v[48:49]
	v_fma_f64 v[44:45], v[38:39], -0.5, v[22:23]
	v_fma_f64 v[64:65], v[64:65], v[106:107], -v[138:139]
	v_fma_f64 v[66:67], v[66:67], v[106:107], v[108:109]
	v_fma_f64 v[54:55], v[88:89], -0.5, v[28:29]
	v_fma_f64 v[58:59], v[46:47], -0.5, v[30:31]
	v_fma_f64 v[24:25], v[52:53], s[6:7], v[36:37]
	v_fma_f64 v[28:29], v[52:53], s[8:9], v[36:37]
	;; [unrolled: 1-line block ×8, first 2 shown]
	v_add_f64 v[44:45], v[86:87], v[60:61]
	v_add_f64 v[56:57], v[16:17], v[68:69]
	v_fma_f64 v[60:61], v[96:97], -0.5, v[16:17]
	v_add_f64 v[86:87], v[70:71], -v[77:78]
	v_add_f64 v[46:47], v[92:93], v[62:63]
	v_add_f64 v[62:63], v[70:71], v[77:78]
	;; [unrolled: 1-line block ×3, first 2 shown]
	v_fma_f64 v[48:49], v[90:91], s[6:7], v[54:55]
	v_fma_f64 v[52:53], v[90:91], s[8:9], v[54:55]
	;; [unrolled: 1-line block ×4, first 2 shown]
	v_add_f64 v[16:17], v[56:57], v[82:83]
	v_add_f64 v[58:59], v[64:65], v[79:80]
	v_fma_f64 v[56:57], v[86:87], s[6:7], v[60:61]
	v_fma_f64 v[60:61], v[86:87], s[8:9], v[60:61]
	v_add_f64 v[86:87], v[66:67], v[84:85]
	v_add_f64 v[70:71], v[18:19], v[70:71]
	v_fma_f64 v[62:63], v[62:63], -0.5, v[18:19]
	v_add_f64 v[68:69], v[68:69], -v[82:83]
	v_add_f64 v[81:82], v[12:13], v[64:65]
	v_add_f64 v[90:91], v[66:67], -v[84:85]
	v_add_f64 v[66:67], v[14:15], v[66:67]
	v_fma_f64 v[88:89], v[58:59], -0.5, v[12:13]
	v_fma_f64 v[86:87], v[86:87], -0.5, v[14:15]
	v_add_f64 v[92:93], v[64:65], -v[79:80]
	v_add_f64 v[18:19], v[70:71], v[77:78]
	v_mov_b32_e32 v77, 0x660
	v_cndmask_b32_e64 v77, 0, v77, s[2:3]
	v_lshlrev_b32_e32 v78, 4, v115
	v_fma_f64 v[58:59], v[68:69], s[8:9], v[62:63]
	v_add3_u32 v77, 0, v77, v78
	v_fma_f64 v[62:63], v[68:69], s[6:7], v[62:63]
	v_add_f64 v[12:13], v[81:82], v[79:80]
	v_add_f64 v[14:15], v[66:67], v[84:85]
	ds_write_b128 v77, v[20:23]
	ds_write_b128 v77, v[36:39] offset:544
	ds_write_b128 v77, v[40:43] offset:1088
	v_mul_u32_u24_e32 v20, 0x660, v146
	v_lshlrev_b32_sdwa v21, v76, v147 dst_sel:DWORD dst_unused:UNUSED_PAD src0_sel:DWORD src1_sel:BYTE_0
	v_fma_f64 v[64:65], v[90:91], s[6:7], v[88:89]
	v_fma_f64 v[66:67], v[92:93], s[8:9], v[86:87]
	v_add3_u32 v20, 0, v20, v21
	v_fma_f64 v[68:69], v[90:91], s[8:9], v[88:89]
	v_fma_f64 v[70:71], v[92:93], s[6:7], v[86:87]
	ds_write_b128 v20, v[32:35]
	ds_write_b128 v20, v[24:27] offset:544
	ds_write_b128 v20, v[28:31] offset:1088
	v_mul_u32_u24_e32 v20, 0x660, v148
	v_lshlrev_b32_sdwa v21, v76, v149 dst_sel:DWORD dst_unused:UNUSED_PAD src0_sel:DWORD src1_sel:BYTE_0
	v_add3_u32 v20, 0, v20, v21
	ds_write_b128 v20, v[44:47]
	ds_write_b128 v20, v[48:51] offset:544
	ds_write_b128 v20, v[52:55] offset:1088
	v_mul_u32_u24_e32 v20, 0x660, v150
	v_lshlrev_b32_sdwa v21, v76, v151 dst_sel:DWORD dst_unused:UNUSED_PAD src0_sel:DWORD src1_sel:BYTE_0
	v_add3_u32 v20, 0, v20, v21
	ds_write_b128 v20, v[16:19]
	ds_write_b128 v20, v[56:59] offset:544
	ds_write_b128 v20, v[60:63] offset:1088
	v_mul_u32_u24_e32 v16, 0x660, v152
	v_lshlrev_b32_sdwa v17, v76, v153 dst_sel:DWORD dst_unused:UNUSED_PAD src0_sel:DWORD src1_sel:BYTE_0
	v_add3_u32 v16, 0, v16, v17
	ds_write_b128 v16, v[12:15]
	ds_write_b128 v16, v[64:67] offset:544
	ds_write_b128 v16, v[68:71] offset:1088
	s_and_saveexec_b64 s[2:3], vcc
	s_cbranch_execz .LBB0_25
; %bb.24:
	s_mov_b32 s14, 0xf0f1
	v_mul_u32_u24_sdwa v12, v74, s14 dst_sel:DWORD dst_unused:UNUSED_PAD src0_sel:WORD_0 src1_sel:DWORD
	v_lshrrev_b32_e32 v12, 21, v12
	v_mul_lo_u16_e32 v12, 34, v12
	v_sub_u16_e32 v24, v74, v12
	v_lshlrev_b32_e32 v20, 5, v24
	global_load_dwordx4 v[12:15], v20, s[12:13] offset:272
	global_load_dwordx4 v[16:19], v20, s[12:13] offset:288
	s_waitcnt vmcnt(1)
	v_mul_f64 v[20:21], v[0:1], v[14:15]
	s_waitcnt vmcnt(0)
	v_mul_f64 v[22:23], v[8:9], v[18:19]
	v_mul_f64 v[14:15], v[2:3], v[14:15]
	;; [unrolled: 1-line block ×3, first 2 shown]
	v_fma_f64 v[2:3], v[2:3], v[12:13], v[20:21]
	v_fma_f64 v[10:11], v[10:11], v[16:17], v[22:23]
	v_fma_f64 v[0:1], v[0:1], v[12:13], -v[14:15]
	v_fma_f64 v[8:9], v[8:9], v[16:17], -v[18:19]
	v_add_f64 v[18:19], v[6:7], v[2:3]
	v_add_f64 v[12:13], v[2:3], v[10:11]
	v_add_f64 v[20:21], v[2:3], -v[10:11]
	v_add_f64 v[14:15], v[0:1], v[8:9]
	v_add_f64 v[16:17], v[0:1], -v[8:9]
	v_add_f64 v[0:1], v[4:5], v[0:1]
	v_add_f64 v[2:3], v[18:19], v[10:11]
	v_fma_f64 v[12:13], v[12:13], -0.5, v[6:7]
	v_fma_f64 v[4:5], v[14:15], -0.5, v[4:5]
	v_add_f64 v[0:1], v[0:1], v[8:9]
	v_fma_f64 v[10:11], v[16:17], s[8:9], v[12:13]
	v_fma_f64 v[6:7], v[16:17], s[6:7], v[12:13]
	;; [unrolled: 1-line block ×4, first 2 shown]
	v_lshl_add_u32 v12, v24, 4, 0
	ds_write_b128 v12, v[0:3] offset:11424
	ds_write_b128 v12, v[8:11] offset:11968
	;; [unrolled: 1-line block ×3, first 2 shown]
.LBB0_25:
	s_or_b64 exec, exec, s[2:3]
	v_mov_b32_e32 v1, s13
	v_add_co_u32_e32 v2, vcc, s12, v218
	s_movk_i32 s2, 0xa1
	v_addc_co_u32_e32 v3, vcc, v1, v219, vcc
	v_mul_lo_u16_sdwa v12, v75, s2 dst_sel:DWORD dst_unused:UNUSED_PAD src0_sel:BYTE_0 src1_sel:DWORD
	s_mov_b32 s2, 0xa0a1
	v_add_co_u32_e32 v0, vcc, s12, v120
	v_lshrrev_b16_e32 v12, 14, v12
	v_mul_u32_u24_sdwa v20, v73, s2 dst_sel:DWORD dst_unused:UNUSED_PAD src0_sel:WORD_0 src1_sel:DWORD
	s_waitcnt lgkmcnt(0)
	; wave barrier
	s_waitcnt lgkmcnt(0)
	v_addc_co_u32_e32 v1, vcc, v1, v121, vcc
	global_load_dwordx4 v[4:7], v[2:3], off offset:1360
	global_load_dwordx4 v[8:11], v[0:1], off offset:2176
	v_mul_lo_u16_e32 v12, 0x66, v12
	v_lshrrev_b32_e32 v20, 22, v20
	v_sub_u16_e32 v12, v75, v12
	v_mov_b32_e32 v13, 4
	v_mul_lo_u16_e32 v20, 0x66, v20
	v_lshlrev_b32_sdwa v115, v13, v12 dst_sel:DWORD dst_unused:UNUSED_PAD src0_sel:DWORD src1_sel:BYTE_0
	v_mul_u32_u24_sdwa v12, v74, s2 dst_sel:DWORD dst_unused:UNUSED_PAD src0_sel:WORD_0 src1_sel:DWORD
	v_sub_u16_e32 v20, v73, v20
	v_lshrrev_b32_e32 v12, 22, v12
	v_lshlrev_b32_e32 v119, 4, v20
	v_mul_u32_u24_sdwa v20, v72, s2 dst_sel:DWORD dst_unused:UNUSED_PAD src0_sel:WORD_0 src1_sel:DWORD
	v_mul_lo_u16_e32 v12, 0x66, v12
	v_lshrrev_b32_e32 v20, 22, v20
	v_sub_u16_e32 v12, v74, v12
	v_mul_lo_u16_e32 v20, 0x66, v20
	v_lshlrev_b32_e32 v118, 4, v12
	global_load_dwordx4 v[12:15], v115, s[12:13] offset:1360
	global_load_dwordx4 v[16:19], v118, s[12:13] offset:1360
	v_sub_u16_e32 v24, v72, v20
	global_load_dwordx4 v[20:23], v119, s[12:13] offset:1360
	v_lshlrev_b32_e32 v120, 4, v24
	global_load_dwordx4 v[24:27], v120, s[12:13] offset:1360
	ds_read_b128 v[28:31], v220
	ds_read_b128 v[32:35], v220 offset:816
	ds_read_b128 v[36:39], v220 offset:6528
	;; [unrolled: 1-line block ×15, first 2 shown]
	s_waitcnt lgkmcnt(0)
	; wave barrier
	s_waitcnt lgkmcnt(0)
	s_movk_i32 s2, 0x1000
	s_waitcnt vmcnt(5)
	v_mul_f64 v[92:93], v[38:39], v[6:7]
	v_mul_f64 v[94:95], v[36:37], v[6:7]
	;; [unrolled: 1-line block ×4, first 2 shown]
	s_waitcnt vmcnt(4)
	v_mul_f64 v[96:97], v[42:43], v[10:11]
	v_mul_f64 v[98:99], v[40:41], v[10:11]
	;; [unrolled: 1-line block ×4, first 2 shown]
	v_fma_f64 v[36:37], v[36:37], v[4:5], -v[92:93]
	v_fma_f64 v[38:39], v[38:39], v[4:5], v[94:95]
	v_fma_f64 v[52:53], v[52:53], v[4:5], -v[100:101]
	v_fma_f64 v[54:55], v[54:55], v[4:5], v[6:7]
	;; [unrolled: 2-line block ×4, first 2 shown]
	v_add_f64 v[4:5], v[28:29], -v[36:37]
	s_waitcnt vmcnt(3)
	v_mul_f64 v[104:105], v[70:71], v[14:15]
	v_mul_f64 v[14:15], v[68:69], v[14:15]
	s_waitcnt vmcnt(2)
	v_mul_f64 v[106:107], v[74:75], v[18:19]
	v_mul_f64 v[18:19], v[72:73], v[18:19]
	;; [unrolled: 3-line block ×4, first 2 shown]
	v_fma_f64 v[68:69], v[68:69], v[12:13], -v[104:105]
	v_fma_f64 v[70:71], v[70:71], v[12:13], v[14:15]
	v_fma_f64 v[72:73], v[72:73], v[16:17], -v[106:107]
	v_fma_f64 v[74:75], v[74:75], v[16:17], v[18:19]
	;; [unrolled: 2-line block ×3, first 2 shown]
	v_add_f64 v[12:13], v[44:45], -v[52:53]
	v_add_f64 v[14:15], v[46:47], -v[54:55]
	v_fma_f64 v[88:89], v[88:89], v[24:25], -v[110:111]
	v_fma_f64 v[90:91], v[90:91], v[24:25], v[26:27]
	v_add_f64 v[16:17], v[48:49], -v[56:57]
	v_add_f64 v[18:19], v[50:51], -v[58:59]
	;; [unrolled: 1-line block ×9, first 2 shown]
	v_fma_f64 v[36:37], v[44:45], 2.0, -v[12:13]
	v_fma_f64 v[38:39], v[46:47], 2.0, -v[14:15]
	v_add_f64 v[44:45], v[76:77], -v[84:85]
	v_add_f64 v[46:47], v[78:79], -v[86:87]
	v_fma_f64 v[40:41], v[48:49], 2.0, -v[16:17]
	v_fma_f64 v[42:43], v[50:51], 2.0, -v[18:19]
	v_add_f64 v[48:49], v[80:81], -v[88:89]
	v_add_f64 v[50:51], v[82:83], -v[90:91]
	v_fma_f64 v[28:29], v[28:29], 2.0, -v[4:5]
	v_fma_f64 v[30:31], v[30:31], 2.0, -v[6:7]
	;; [unrolled: 1-line block ×12, first 2 shown]
	ds_write_b128 v220, v[28:31]
	ds_write_b128 v220, v[4:7] offset:1632
	ds_write_b128 v220, v[32:35] offset:816
	;; [unrolled: 1-line block ×7, first 2 shown]
	v_add_u32_e32 v4, 0, v115
	ds_write_b128 v4, v[52:55] offset:6528
	ds_write_b128 v4, v[20:23] offset:8160
	v_add_u32_e32 v4, 0, v118
	ds_write_b128 v4, v[56:59] offset:6528
	ds_write_b128 v4, v[24:27] offset:8160
	;; [unrolled: 3-line block ×4, first 2 shown]
	s_waitcnt lgkmcnt(0)
	; wave barrier
	s_waitcnt lgkmcnt(0)
	global_load_dwordx4 v[4:7], v[2:3], off offset:2992
	global_load_dwordx4 v[8:11], v[0:1], off offset:3808
	v_add_co_u32_e32 v84, vcc, s2, v0
	v_addc_co_u32_e32 v85, vcc, 0, v1, vcc
	global_load_dwordx4 v[12:15], v[84:85], off offset:528
	global_load_dwordx4 v[16:19], v[84:85], off offset:1344
	ds_read_b128 v[20:23], v220
	ds_read_b128 v[24:27], v220 offset:816
	ds_read_b128 v[28:31], v220 offset:6528
	;; [unrolled: 1-line block ×15, first 2 shown]
	s_waitcnt lgkmcnt(0)
	; wave barrier
	s_waitcnt vmcnt(3) lgkmcnt(0)
	v_mul_f64 v[86:87], v[30:31], v[6:7]
	v_mul_f64 v[88:89], v[28:29], v[6:7]
	s_waitcnt vmcnt(2)
	v_mul_f64 v[90:91], v[34:35], v[10:11]
	v_mul_f64 v[92:93], v[32:33], v[10:11]
	;; [unrolled: 1-line block ×3, first 2 shown]
	s_waitcnt vmcnt(1)
	v_mul_f64 v[94:95], v[46:47], v[14:15]
	v_mul_f64 v[96:97], v[44:45], v[14:15]
	s_waitcnt vmcnt(0)
	v_mul_f64 v[98:99], v[50:51], v[18:19]
	v_mul_f64 v[100:101], v[48:49], v[18:19]
	v_mul_f64 v[6:7], v[60:61], v[6:7]
	v_mul_f64 v[104:105], v[66:67], v[10:11]
	v_mul_f64 v[10:11], v[64:65], v[10:11]
	v_mul_f64 v[106:107], v[78:79], v[14:15]
	v_mul_f64 v[14:15], v[76:77], v[14:15]
	v_mul_f64 v[108:109], v[82:83], v[18:19]
	v_mul_f64 v[18:19], v[80:81], v[18:19]
	v_fma_f64 v[28:29], v[28:29], v[4:5], -v[86:87]
	v_fma_f64 v[30:31], v[30:31], v[4:5], v[88:89]
	v_fma_f64 v[32:33], v[32:33], v[8:9], -v[90:91]
	v_fma_f64 v[34:35], v[34:35], v[8:9], v[92:93]
	;; [unrolled: 2-line block ×8, first 2 shown]
	v_add_f64 v[4:5], v[20:21], -v[28:29]
	v_add_f64 v[6:7], v[22:23], -v[30:31]
	v_add_f64 v[8:9], v[24:25], -v[32:33]
	v_add_f64 v[10:11], v[26:27], -v[34:35]
	v_add_f64 v[12:13], v[36:37], -v[44:45]
	v_add_f64 v[14:15], v[38:39], -v[46:47]
	v_add_f64 v[16:17], v[40:41], -v[48:49]
	v_add_f64 v[18:19], v[42:43], -v[50:51]
	v_add_f64 v[28:29], v[52:53], -v[60:61]
	v_add_f64 v[30:31], v[54:55], -v[62:63]
	v_add_f64 v[32:33], v[56:57], -v[64:65]
	v_add_f64 v[34:35], v[58:59], -v[66:67]
	v_add_f64 v[44:45], v[68:69], -v[76:77]
	v_add_f64 v[46:47], v[70:71], -v[78:79]
	v_fma_f64 v[20:21], v[20:21], 2.0, -v[4:5]
	v_fma_f64 v[22:23], v[22:23], 2.0, -v[6:7]
	v_add_f64 v[48:49], v[72:73], -v[80:81]
	v_add_f64 v[50:51], v[74:75], -v[82:83]
	v_fma_f64 v[24:25], v[24:25], 2.0, -v[8:9]
	v_fma_f64 v[26:27], v[26:27], 2.0, -v[10:11]
	;; [unrolled: 1-line block ×14, first 2 shown]
	ds_write_b128 v220, v[20:23]
	ds_write_b128 v220, v[4:7] offset:3264
	ds_write_b128 v220, v[24:27] offset:816
	;; [unrolled: 1-line block ×15, first 2 shown]
	v_add_co_u32_e32 v14, vcc, s2, v2
	v_addc_co_u32_e32 v15, vcc, 0, v3, vcc
	s_waitcnt lgkmcnt(0)
	; wave barrier
	s_waitcnt lgkmcnt(0)
	global_load_dwordx4 v[2:5], v[14:15], off offset:2160
	global_load_dwordx4 v[6:9], v[84:85], off offset:2976
	;; [unrolled: 1-line block ×3, first 2 shown]
	s_movk_i32 s2, 0x2000
	v_add_co_u32_e32 v0, vcc, s2, v0
	v_addc_co_u32_e32 v1, vcc, 0, v1, vcc
	global_load_dwordx4 v[14:17], v[0:1], off offset:512
	global_load_dwordx4 v[18:21], v[0:1], off offset:1328
	;; [unrolled: 1-line block ×5, first 2 shown]
	ds_read_b128 v[34:37], v220
	ds_read_b128 v[38:41], v220 offset:816
	ds_read_b128 v[42:45], v220 offset:6528
	;; [unrolled: 1-line block ×15, first 2 shown]
	s_waitcnt lgkmcnt(0)
	; wave barrier
	s_waitcnt vmcnt(7) lgkmcnt(0)
	v_mul_f64 v[0:1], v[44:45], v[4:5]
	v_mul_f64 v[4:5], v[42:43], v[4:5]
	s_waitcnt vmcnt(6)
	v_mul_f64 v[98:99], v[48:49], v[8:9]
	v_mul_f64 v[8:9], v[46:47], v[8:9]
	s_waitcnt vmcnt(5)
	;; [unrolled: 3-line block ×7, first 2 shown]
	v_mul_f64 v[110:111], v[96:97], v[32:33]
	v_mul_f64 v[32:33], v[94:95], v[32:33]
	v_fma_f64 v[0:1], v[42:43], v[2:3], -v[0:1]
	v_fma_f64 v[2:3], v[44:45], v[2:3], v[4:5]
	v_fma_f64 v[4:5], v[46:47], v[6:7], -v[98:99]
	v_fma_f64 v[6:7], v[48:49], v[6:7], v[8:9]
	;; [unrolled: 2-line block ×8, first 2 shown]
	v_add_f64 v[0:1], v[34:35], -v[0:1]
	v_add_f64 v[2:3], v[36:37], -v[2:3]
	;; [unrolled: 1-line block ×9, first 2 shown]
	v_fma_f64 v[20:21], v[34:35], 2.0, -v[0:1]
	v_fma_f64 v[22:23], v[36:37], 2.0, -v[2:3]
	;; [unrolled: 1-line block ×4, first 2 shown]
	v_add_f64 v[18:19], v[68:69], -v[18:19]
	v_add_f64 v[36:37], v[70:71], -v[42:43]
	;; [unrolled: 1-line block ×7, first 2 shown]
	v_fma_f64 v[28:29], v[50:51], 2.0, -v[8:9]
	v_fma_f64 v[30:31], v[52:53], 2.0, -v[10:11]
	;; [unrolled: 1-line block ×12, first 2 shown]
	ds_write_b128 v220, v[20:23]
	ds_write_b128 v220, v[0:3] offset:6528
	ds_write_b128 v220, v[24:27] offset:816
	;; [unrolled: 1-line block ×15, first 2 shown]
	s_waitcnt lgkmcnt(0)
	; wave barrier
	s_waitcnt lgkmcnt(0)
	s_and_saveexec_b64 s[2:3], s[0:1]
	s_cbranch_execz .LBB0_27
; %bb.26:
	v_mul_lo_u32 v0, s5, v116
	v_mul_lo_u32 v1, s4, v117
	v_mad_u64_u32 v[4:5], s[0:1], s4, v116, 0
	v_mov_b32_e32 v6, s11
	v_lshl_add_u32 v10, v114, 4, 0
	v_add3_u32 v5, v5, v1, v0
	v_lshlrev_b64 v[4:5], 4, v[4:5]
	v_mov_b32_e32 v115, 0
	v_add_co_u32_e32 v7, vcc, s10, v4
	v_addc_co_u32_e32 v6, vcc, v6, v5, vcc
	v_lshlrev_b64 v[4:5], 4, v[112:113]
	ds_read_b128 v[0:3], v10
	v_add_co_u32_e32 v11, vcc, v7, v4
	v_addc_co_u32_e32 v12, vcc, v6, v5, vcc
	v_lshlrev_b64 v[4:5], 4, v[114:115]
	v_add_co_u32_e32 v8, vcc, v11, v4
	v_addc_co_u32_e32 v9, vcc, v12, v5, vcc
	ds_read_b128 v[4:7], v10 offset:816
	s_waitcnt lgkmcnt(1)
	global_store_dwordx4 v[8:9], v[0:3], off
	s_nop 0
	v_add_u32_e32 v0, 51, v114
	v_mov_b32_e32 v1, v115
	v_lshlrev_b64 v[0:1], 4, v[0:1]
	v_add_co_u32_e32 v0, vcc, v11, v0
	v_addc_co_u32_e32 v1, vcc, v12, v1, vcc
	s_waitcnt lgkmcnt(0)
	global_store_dwordx4 v[0:1], v[4:7], off
	ds_read_b128 v[0:3], v10 offset:1632
	v_add_u32_e32 v4, 0x66, v114
	v_mov_b32_e32 v5, v115
	v_lshlrev_b64 v[4:5], 4, v[4:5]
	v_add_co_u32_e32 v8, vcc, v11, v4
	v_addc_co_u32_e32 v9, vcc, v12, v5, vcc
	ds_read_b128 v[4:7], v10 offset:2448
	s_waitcnt lgkmcnt(1)
	global_store_dwordx4 v[8:9], v[0:3], off
	s_nop 0
	v_add_u32_e32 v0, 0x99, v114
	v_mov_b32_e32 v1, v115
	v_lshlrev_b64 v[0:1], 4, v[0:1]
	v_add_co_u32_e32 v0, vcc, v11, v0
	v_addc_co_u32_e32 v1, vcc, v12, v1, vcc
	s_waitcnt lgkmcnt(0)
	global_store_dwordx4 v[0:1], v[4:7], off
	ds_read_b128 v[0:3], v10 offset:3264
	v_add_u32_e32 v4, 0xcc, v114
	v_mov_b32_e32 v5, v115
	v_lshlrev_b64 v[4:5], 4, v[4:5]
	v_add_co_u32_e32 v8, vcc, v11, v4
	v_addc_co_u32_e32 v9, vcc, v12, v5, vcc
	ds_read_b128 v[4:7], v10 offset:4080
	s_waitcnt lgkmcnt(1)
	global_store_dwordx4 v[8:9], v[0:3], off
	s_nop 0
	v_add_u32_e32 v0, 0xff, v114
	v_mov_b32_e32 v1, v115
	v_lshlrev_b64 v[0:1], 4, v[0:1]
	v_add_co_u32_e32 v0, vcc, v11, v0
	v_addc_co_u32_e32 v1, vcc, v12, v1, vcc
	s_waitcnt lgkmcnt(0)
	global_store_dwordx4 v[0:1], v[4:7], off
	ds_read_b128 v[0:3], v10 offset:4896
	v_add_u32_e32 v4, 0x132, v114
	v_mov_b32_e32 v5, v115
	v_lshlrev_b64 v[4:5], 4, v[4:5]
	v_add_co_u32_e32 v8, vcc, v11, v4
	v_addc_co_u32_e32 v9, vcc, v12, v5, vcc
	ds_read_b128 v[4:7], v10 offset:5712
	s_waitcnt lgkmcnt(1)
	global_store_dwordx4 v[8:9], v[0:3], off
	s_nop 0
	v_add_u32_e32 v0, 0x165, v114
	v_mov_b32_e32 v1, v115
	v_lshlrev_b64 v[0:1], 4, v[0:1]
	v_add_co_u32_e32 v0, vcc, v11, v0
	v_addc_co_u32_e32 v1, vcc, v12, v1, vcc
	s_waitcnt lgkmcnt(0)
	global_store_dwordx4 v[0:1], v[4:7], off
	ds_read_b128 v[0:3], v10 offset:6528
	v_add_u32_e32 v4, 0x198, v114
	v_mov_b32_e32 v5, v115
	v_lshlrev_b64 v[4:5], 4, v[4:5]
	v_add_co_u32_e32 v8, vcc, v11, v4
	v_addc_co_u32_e32 v9, vcc, v12, v5, vcc
	ds_read_b128 v[4:7], v10 offset:7344
	s_waitcnt lgkmcnt(1)
	global_store_dwordx4 v[8:9], v[0:3], off
	s_nop 0
	v_add_u32_e32 v0, 0x1cb, v114
	v_mov_b32_e32 v1, v115
	v_lshlrev_b64 v[0:1], 4, v[0:1]
	v_add_co_u32_e32 v0, vcc, v11, v0
	v_addc_co_u32_e32 v1, vcc, v12, v1, vcc
	s_waitcnt lgkmcnt(0)
	global_store_dwordx4 v[0:1], v[4:7], off
	ds_read_b128 v[0:3], v10 offset:8160
	v_add_u32_e32 v4, 0x1fe, v114
	v_mov_b32_e32 v5, v115
	v_lshlrev_b64 v[4:5], 4, v[4:5]
	v_add_co_u32_e32 v8, vcc, v11, v4
	v_addc_co_u32_e32 v9, vcc, v12, v5, vcc
	ds_read_b128 v[4:7], v10 offset:8976
	s_waitcnt lgkmcnt(1)
	global_store_dwordx4 v[8:9], v[0:3], off
	s_nop 0
	v_add_u32_e32 v0, 0x231, v114
	v_mov_b32_e32 v1, v115
	v_lshlrev_b64 v[0:1], 4, v[0:1]
	v_add_co_u32_e32 v0, vcc, v11, v0
	v_addc_co_u32_e32 v1, vcc, v12, v1, vcc
	s_waitcnt lgkmcnt(0)
	global_store_dwordx4 v[0:1], v[4:7], off
	ds_read_b128 v[0:3], v10 offset:9792
	v_add_u32_e32 v4, 0x264, v114
	v_mov_b32_e32 v5, v115
	v_lshlrev_b64 v[4:5], 4, v[4:5]
	v_add_co_u32_e32 v8, vcc, v11, v4
	v_addc_co_u32_e32 v9, vcc, v12, v5, vcc
	ds_read_b128 v[4:7], v10 offset:10608
	s_waitcnt lgkmcnt(1)
	global_store_dwordx4 v[8:9], v[0:3], off
	s_nop 0
	v_add_u32_e32 v0, 0x297, v114
	v_mov_b32_e32 v1, v115
	v_lshlrev_b64 v[0:1], 4, v[0:1]
	v_add_co_u32_e32 v0, vcc, v11, v0
	v_addc_co_u32_e32 v1, vcc, v12, v1, vcc
	s_waitcnt lgkmcnt(0)
	global_store_dwordx4 v[0:1], v[4:7], off
	ds_read_b128 v[0:3], v10 offset:11424
	v_add_u32_e32 v4, 0x2ca, v114
	v_mov_b32_e32 v5, v115
	v_lshlrev_b64 v[4:5], 4, v[4:5]
	v_add_u32_e32 v114, 0x2fd, v114
	v_add_co_u32_e32 v8, vcc, v11, v4
	v_addc_co_u32_e32 v9, vcc, v12, v5, vcc
	ds_read_b128 v[4:7], v10 offset:12240
	s_waitcnt lgkmcnt(1)
	global_store_dwordx4 v[8:9], v[0:3], off
	s_nop 0
	v_lshlrev_b64 v[0:1], 4, v[114:115]
	v_add_co_u32_e32 v0, vcc, v11, v0
	v_addc_co_u32_e32 v1, vcc, v12, v1, vcc
	s_waitcnt lgkmcnt(0)
	global_store_dwordx4 v[0:1], v[4:7], off
.LBB0_27:
	s_endpgm
	.section	.rodata,"a",@progbits
	.p2align	6, 0x0
	.amdhsa_kernel fft_rtc_fwd_len816_factors_17_2_3_2_2_2_wgs_51_tpt_51_halfLds_dp_op_CI_CI_unitstride_sbrr_C2R_dirReg
		.amdhsa_group_segment_fixed_size 0
		.amdhsa_private_segment_fixed_size 12
		.amdhsa_kernarg_size 104
		.amdhsa_user_sgpr_count 6
		.amdhsa_user_sgpr_private_segment_buffer 1
		.amdhsa_user_sgpr_dispatch_ptr 0
		.amdhsa_user_sgpr_queue_ptr 0
		.amdhsa_user_sgpr_kernarg_segment_ptr 1
		.amdhsa_user_sgpr_dispatch_id 0
		.amdhsa_user_sgpr_flat_scratch_init 0
		.amdhsa_user_sgpr_private_segment_size 0
		.amdhsa_uses_dynamic_stack 0
		.amdhsa_system_sgpr_private_segment_wavefront_offset 1
		.amdhsa_system_sgpr_workgroup_id_x 1
		.amdhsa_system_sgpr_workgroup_id_y 0
		.amdhsa_system_sgpr_workgroup_id_z 0
		.amdhsa_system_sgpr_workgroup_info 0
		.amdhsa_system_vgpr_workitem_id 0
		.amdhsa_next_free_vgpr 255
		.amdhsa_next_free_sgpr 64
		.amdhsa_reserve_vcc 1
		.amdhsa_reserve_flat_scratch 0
		.amdhsa_float_round_mode_32 0
		.amdhsa_float_round_mode_16_64 0
		.amdhsa_float_denorm_mode_32 3
		.amdhsa_float_denorm_mode_16_64 3
		.amdhsa_dx10_clamp 1
		.amdhsa_ieee_mode 1
		.amdhsa_fp16_overflow 0
		.amdhsa_exception_fp_ieee_invalid_op 0
		.amdhsa_exception_fp_denorm_src 0
		.amdhsa_exception_fp_ieee_div_zero 0
		.amdhsa_exception_fp_ieee_overflow 0
		.amdhsa_exception_fp_ieee_underflow 0
		.amdhsa_exception_fp_ieee_inexact 0
		.amdhsa_exception_int_div_zero 0
	.end_amdhsa_kernel
	.text
.Lfunc_end0:
	.size	fft_rtc_fwd_len816_factors_17_2_3_2_2_2_wgs_51_tpt_51_halfLds_dp_op_CI_CI_unitstride_sbrr_C2R_dirReg, .Lfunc_end0-fft_rtc_fwd_len816_factors_17_2_3_2_2_2_wgs_51_tpt_51_halfLds_dp_op_CI_CI_unitstride_sbrr_C2R_dirReg
                                        ; -- End function
	.section	.AMDGPU.csdata,"",@progbits
; Kernel info:
; codeLenInByte = 16384
; NumSgprs: 68
; NumVgprs: 255
; ScratchSize: 12
; MemoryBound: 0
; FloatMode: 240
; IeeeMode: 1
; LDSByteSize: 0 bytes/workgroup (compile time only)
; SGPRBlocks: 8
; VGPRBlocks: 63
; NumSGPRsForWavesPerEU: 68
; NumVGPRsForWavesPerEU: 255
; Occupancy: 1
; WaveLimiterHint : 1
; COMPUTE_PGM_RSRC2:SCRATCH_EN: 1
; COMPUTE_PGM_RSRC2:USER_SGPR: 6
; COMPUTE_PGM_RSRC2:TRAP_HANDLER: 0
; COMPUTE_PGM_RSRC2:TGID_X_EN: 1
; COMPUTE_PGM_RSRC2:TGID_Y_EN: 0
; COMPUTE_PGM_RSRC2:TGID_Z_EN: 0
; COMPUTE_PGM_RSRC2:TIDIG_COMP_CNT: 0
	.type	__hip_cuid_d8b2705b1c64f193,@object ; @__hip_cuid_d8b2705b1c64f193
	.section	.bss,"aw",@nobits
	.globl	__hip_cuid_d8b2705b1c64f193
__hip_cuid_d8b2705b1c64f193:
	.byte	0                               ; 0x0
	.size	__hip_cuid_d8b2705b1c64f193, 1

	.ident	"AMD clang version 19.0.0git (https://github.com/RadeonOpenCompute/llvm-project roc-6.4.0 25133 c7fe45cf4b819c5991fe208aaa96edf142730f1d)"
	.section	".note.GNU-stack","",@progbits
	.addrsig
	.addrsig_sym __hip_cuid_d8b2705b1c64f193
	.amdgpu_metadata
---
amdhsa.kernels:
  - .args:
      - .actual_access:  read_only
        .address_space:  global
        .offset:         0
        .size:           8
        .value_kind:     global_buffer
      - .offset:         8
        .size:           8
        .value_kind:     by_value
      - .actual_access:  read_only
        .address_space:  global
        .offset:         16
        .size:           8
        .value_kind:     global_buffer
      - .actual_access:  read_only
        .address_space:  global
        .offset:         24
        .size:           8
        .value_kind:     global_buffer
      - .actual_access:  read_only
        .address_space:  global
        .offset:         32
        .size:           8
        .value_kind:     global_buffer
      - .offset:         40
        .size:           8
        .value_kind:     by_value
      - .actual_access:  read_only
        .address_space:  global
        .offset:         48
        .size:           8
        .value_kind:     global_buffer
      - .actual_access:  read_only
        .address_space:  global
        .offset:         56
        .size:           8
        .value_kind:     global_buffer
      - .offset:         64
        .size:           4
        .value_kind:     by_value
      - .actual_access:  read_only
        .address_space:  global
        .offset:         72
        .size:           8
        .value_kind:     global_buffer
      - .actual_access:  read_only
        .address_space:  global
        .offset:         80
        .size:           8
        .value_kind:     global_buffer
      - .actual_access:  read_only
        .address_space:  global
        .offset:         88
        .size:           8
        .value_kind:     global_buffer
      - .actual_access:  write_only
        .address_space:  global
        .offset:         96
        .size:           8
        .value_kind:     global_buffer
    .group_segment_fixed_size: 0
    .kernarg_segment_align: 8
    .kernarg_segment_size: 104
    .language:       OpenCL C
    .language_version:
      - 2
      - 0
    .max_flat_workgroup_size: 51
    .name:           fft_rtc_fwd_len816_factors_17_2_3_2_2_2_wgs_51_tpt_51_halfLds_dp_op_CI_CI_unitstride_sbrr_C2R_dirReg
    .private_segment_fixed_size: 12
    .sgpr_count:     68
    .sgpr_spill_count: 0
    .symbol:         fft_rtc_fwd_len816_factors_17_2_3_2_2_2_wgs_51_tpt_51_halfLds_dp_op_CI_CI_unitstride_sbrr_C2R_dirReg.kd
    .uniform_work_group_size: 1
    .uses_dynamic_stack: false
    .vgpr_count:     255
    .vgpr_spill_count: 2
    .wavefront_size: 64
amdhsa.target:   amdgcn-amd-amdhsa--gfx906
amdhsa.version:
  - 1
  - 2
...

	.end_amdgpu_metadata
